;; amdgpu-corpus repo=zjin-lcf/HeCBench kind=compiled arch=gfx1250 opt=O3
	.amdgcn_target "amdgcn-amd-amdhsa--gfx1250"
	.amdhsa_code_object_version 6
	.section	.text._Z7dfs_gpuILi7EEvPl,"axG",@progbits,_Z7dfs_gpuILi7EEvPl,comdat
	.protected	_Z7dfs_gpuILi7EEvPl     ; -- Begin function _Z7dfs_gpuILi7EEvPl
	.globl	_Z7dfs_gpuILi7EEvPl
	.p2align	8
	.type	_Z7dfs_gpuILi7EEvPl,@function
_Z7dfs_gpuILi7EEvPl:                    ; @_Z7dfs_gpuILi7EEvPl
; %bb.0:
	s_bfe_u32 s2, ttmp6, 0x4000c
	s_and_b32 s3, ttmp6, 15
	s_add_co_i32 s2, s2, 1
	s_getreg_b32 s4, hwreg(HW_REG_IB_STS2, 6, 4)
	s_mul_i32 s2, ttmp9, s2
	v_dual_mov_b32 v1, 0 :: v_dual_mov_b32 v8, 0x7f
	s_add_co_i32 s3, s3, s2
	s_cmp_eq_u32 s4, 0
	v_mad_u32_u24 v12, v0, 60, 0x660
	s_cselect_b32 s4, ttmp9, s3
	s_load_b64 s[2:3], s[0:1], 0x0
	v_lshl_add_u32 v6, s4, 2, v0
	s_wait_xcnt 0x0
	s_movk_i32 s0, 0xa8
	v_mul_u32_u24_e32 v4, 60, v0
	v_mul_u32_u24_e32 v13, 0xf0, v0
	v_mad_u32_u24 v14, v0, s0, 0x3c0
	v_lshl_add_u32 v15, v0, 3, 0x750
	v_dual_mov_b32 v3, v1 :: v_dual_ashrrev_i32 v7, 31, v6
	v_dual_mov_b32 v9, 0xff00 :: v_dual_mov_b32 v16, 1
	v_mov_b32_e32 v19, 4
	v_mul_u32_u24_e32 v5, 0xa8, v0
	v_dual_mov_b32 v0, v1 :: v_dual_mov_b32 v2, v1
	s_mov_b32 s4, 0
	ds_store_b32 v4, v8 offset:1632
	ds_store_b128 v13, v[0:3]
	ds_store_b32 v5, v9 offset:960
	s_branch .LBB0_3
.LBB0_1:                                ;   in Loop: Header=BB0_3 Depth=1
	s_or_b32 exec_lo, exec_lo, s0
.LBB0_2:                                ;   in Loop: Header=BB0_3 Depth=1
	s_delay_alu instid0(SALU_CYCLE_1) | instskip(SKIP_3) | instid1(SALU_CYCLE_1)
	s_or_b32 exec_lo, exec_lo, s5
	v_cmp_eq_u32_e32 vcc_lo, 0, v17
	v_mov_b32_e32 v19, v17
	s_or_b32 s4, vcc_lo, s4
	s_and_not1_b32 exec_lo, exec_lo, s4
	s_cbranch_execz .LBB0_42
.LBB0_3:                                ; =>This Inner Loop Header: Depth=1
	s_delay_alu instid0(VALU_DEP_1) | instskip(NEXT) | instid1(VALU_DEP_1)
	v_dual_add_nc_u32 v17, -4, v19 :: v_dual_add_nc_u32 v0, v14, v19
	v_dual_add_nc_u32 v20, v14, v17 :: v_dual_add_nc_u32 v2, -2, v0
	v_add_nc_u32_e32 v8, -1, v0
	ds_load_u8 v21, v20
	s_wait_dscnt 0x0
	v_bfe_i32 v11, v21, 0, 8
	s_delay_alu instid0(VALU_DEP_1)
	v_dual_add_nc_u32 v3, -3, v0 :: v_dual_lshlrev_b32 v4, 4, v11
	ds_load_u8 v22, v2
	ds_load_i8 v10, v3
	v_lshl_add_u32 v0, v11, 2, v12
	v_add_nc_u32_e32 v9, v13, v4
	ds_load_b128 v[2:5], v9
	ds_load_u8 v18, v8
	ds_load_b32 v8, v0
	s_wait_dscnt 0x4
	v_cmp_ne_u16_e64 s0, 0, v22
	s_wait_dscnt 0x3
	v_cmp_gt_i16_e32 vcc_lo, 0, v10
	s_wait_dscnt 0x2
	ds_store_b128 v9, v[2:5] offset:16
	s_and_saveexec_b32 s1, s0
	s_delay_alu instid0(SALU_CYCLE_1)
	s_xor_b32 s0, exec_lo, s1
	s_cbranch_execz .LBB0_9
; %bb.4:                                ;   in Loop: Header=BB0_3 Depth=1
	s_and_saveexec_b32 s1, vcc_lo
	s_delay_alu instid0(SALU_CYCLE_1)
	s_xor_b32 s1, exec_lo, s1
	s_cbranch_execz .LBB0_6
; %bb.5:                                ;   in Loop: Header=BB0_3 Depth=1
	v_lshrrev_b64 v[10:11], v11, 0x2000
	s_wait_dscnt 0x2
	v_add_nc_u16 v18, v18, 1
	s_delay_alu instid0(VALU_DEP_2) | instskip(NEXT) | instid1(VALU_DEP_3)
	v_or_b32_e32 v5, v5, v11
	v_or_b32_e32 v4, v4, v10
                                        ; implicit-def: $vgpr10
	ds_store_b64 v9, v[4:5] offset:24
                                        ; implicit-def: $vgpr9
.LBB0_6:                                ;   in Loop: Header=BB0_3 Depth=1
	s_and_not1_saveexec_b32 s1, s1
	s_cbranch_execz .LBB0_8
; %bb.7:                                ;   in Loop: Header=BB0_3 Depth=1
	v_bfe_i32 v22, v10, 0, 16
	v_add_nc_u64_e32 v[10:11], -1, v[4:5]
	s_delay_alu instid0(VALU_DEP_2) | instskip(NEXT) | instid1(VALU_DEP_2)
	v_lshlrev_b32_e64 v23, v22, 1
	v_dual_add_nc_u32 v22, v15, v22 :: v_dual_bitop2_b32 v4, v10, v4 bitop3:0x40
	s_delay_alu instid0(VALU_DEP_3) | instskip(SKIP_1) | instid1(VALU_DEP_3)
	v_and_b32_e32 v5, v11, v5
	s_wait_dscnt 0x1
	v_xor_b32_e32 v8, v8, v23
	ds_store_b8 v22, v21
	ds_store_b64 v9, v[4:5] offset:24
.LBB0_8:                                ;   in Loop: Header=BB0_3 Depth=1
	s_or_b32 exec_lo, exec_lo, s1
                                        ; implicit-def: $vgpr10
                                        ; implicit-def: $vgpr9
                                        ; implicit-def: $vgpr11
.LBB0_9:                                ;   in Loop: Header=BB0_3 Depth=1
	s_and_not1_saveexec_b32 s0, s0
	s_cbranch_execz .LBB0_15
; %bb.10:                               ;   in Loop: Header=BB0_3 Depth=1
	s_and_saveexec_b32 s1, vcc_lo
	s_delay_alu instid0(SALU_CYCLE_1)
	s_xor_b32 s1, exec_lo, s1
	s_cbranch_execz .LBB0_12
; %bb.11:                               ;   in Loop: Header=BB0_3 Depth=1
	v_lshrrev_b64 v[10:11], v11, 0x2000
	s_wait_dscnt 0x2
	v_add_nc_u16 v18, v18, 1
	s_delay_alu instid0(VALU_DEP_2) | instskip(NEXT) | instid1(VALU_DEP_3)
	v_or_b32_e32 v3, v11, v3
	v_or_b32_e32 v2, v10, v2
                                        ; implicit-def: $vgpr10
	ds_store_b64 v9, v[2:3] offset:16
                                        ; implicit-def: $vgpr9
.LBB0_12:                               ;   in Loop: Header=BB0_3 Depth=1
	s_and_not1_saveexec_b32 s1, s1
	s_cbranch_execz .LBB0_14
; %bb.13:                               ;   in Loop: Header=BB0_3 Depth=1
	v_bfe_i32 v22, v10, 0, 16
	v_add_nc_u64_e32 v[10:11], -1, v[2:3]
	s_delay_alu instid0(VALU_DEP_2) | instskip(SKIP_1) | instid1(VALU_DEP_3)
	v_lshlrev_b32_e64 v23, v22, 1
	v_add_nc_u32_e32 v22, v15, v22
	v_and_b32_e32 v3, v11, v3
	s_delay_alu instid0(VALU_DEP_4)
	v_and_b32_e32 v2, v10, v2
	s_wait_dscnt 0x1
	v_xor_b32_e32 v8, v8, v23
	ds_store_b8 v22, v21
	ds_store_b64 v9, v[2:3] offset:16
.LBB0_14:                               ;   in Loop: Header=BB0_3 Depth=1
	s_or_b32 exec_lo, exec_lo, s1
.LBB0_15:                               ;   in Loop: Header=BB0_3 Depth=1
	s_delay_alu instid0(SALU_CYCLE_1)
	s_or_b32 exec_lo, exec_lo, s0
	s_wait_dscnt 0x1
	ds_store_b32 v0, v8 offset:4
	v_and_b32_e32 v0, 0xff, v21
	s_mov_b32 s0, 0
	s_mov_b32 s1, exec_lo
	s_delay_alu instid0(VALU_DEP_1)
	v_cmpx_lt_i16_e32 12, v0
	s_xor_b32 s1, exec_lo, s1
	s_cbranch_execnz .LBB0_18
; %bb.16:                               ;   in Loop: Header=BB0_3 Depth=1
	s_and_not1_saveexec_b32 s1, s1
	s_cbranch_execnz .LBB0_25
.LBB0_17:                               ;   in Loop: Header=BB0_3 Depth=1
	s_or_b32 exec_lo, exec_lo, s1
	s_and_saveexec_b32 s5, s0
	s_cbranch_execz .LBB0_2
	s_branch .LBB0_28
.LBB0_18:                               ;   in Loop: Header=BB0_3 Depth=1
	s_mov_b32 s5, -1
	s_mov_b32 s0, exec_lo
	v_cmpx_eq_u16_e32 13, v0
	s_cbranch_execz .LBB0_24
; %bb.19:                               ;   in Loop: Header=BB0_3 Depth=1
	s_mov_b32 s6, exec_lo
	s_mov_b32 s5, exec_lo
	v_mbcnt_lo_u32_b32 v0, s6, 0
                                        ; implicit-def: $vgpr10_vgpr11
	s_delay_alu instid0(VALU_DEP_1)
	v_cmpx_eq_u32_e32 0, v0
	s_cbranch_execz .LBB0_21
; %bb.20:                               ;   in Loop: Header=BB0_3 Depth=1
	s_bcnt1_i32_b32 s6, s6
	s_delay_alu instid0(SALU_CYCLE_1)
	v_dual_mov_b32 v11, v1 :: v_dual_mov_b32 v10, s6
	s_wait_kmcnt 0x0
	global_atomic_add_u64 v[10:11], v1, v[10:11], s[2:3] th:TH_ATOMIC_RETURN scope:SCOPE_DEV
.LBB0_21:                               ;   in Loop: Header=BB0_3 Depth=1
	s_wait_xcnt 0x0
	s_or_b32 exec_lo, exec_lo, s5
	s_wait_loadcnt 0x0
	v_readfirstlane_b32 s7, v11
	v_readfirstlane_b32 s6, v10
	s_mov_b32 s5, exec_lo
	v_add_nc_u64_e32 v[10:11], s[6:7], v[0:1]
	s_delay_alu instid0(VALU_DEP_1)
	v_cmpx_gt_i64_e32 0x5f5e100, v[10:11]
	s_cbranch_execz .LBB0_23
; %bb.22:                               ;   in Loop: Header=BB0_3 Depth=1
	ds_load_b64 v[22:23], v15
	s_wait_kmcnt 0x0
	v_lshl_add_u64 v[10:11], v[10:11], 3, s[2:3]
	s_wait_dscnt 0x0
	global_store_b64 v[10:11], v[22:23], off offset:8
.LBB0_23:                               ;   in Loop: Header=BB0_3 Depth=1
	s_wait_xcnt 0x0
	s_or_b32 exec_lo, exec_lo, s5
	s_delay_alu instid0(SALU_CYCLE_1)
	s_xor_b32 s5, exec_lo, -1
.LBB0_24:                               ;   in Loop: Header=BB0_3 Depth=1
	s_or_b32 exec_lo, exec_lo, s0
	s_delay_alu instid0(SALU_CYCLE_1)
	s_and_b32 s0, s5, exec_lo
                                        ; implicit-def: $vgpr0
	s_and_not1_saveexec_b32 s1, s1
	s_cbranch_execz .LBB0_17
.LBB0_25:                               ;   in Loop: Header=BB0_3 Depth=1
	s_mov_b32 s6, -1
	s_mov_b32 s5, exec_lo
	v_cmpx_eq_u16_e32 1, v0
	s_cbranch_execz .LBB0_27
; %bb.26:                               ;   in Loop: Header=BB0_3 Depth=1
	v_sub_nc_u64_e32 v[10:11], v[4:5], v[2:3]
	v_ashrrev_i32_e32 v9, 31, v8
	s_delay_alu instid0(VALU_DEP_1) | instskip(NEXT) | instid1(VALU_DEP_1)
	v_mad_nc_u64_u32 v[22:23], 0x1ffff, v10, v[8:9]
	v_mov_b32_e32 v0, v22
	s_delay_alu instid0(VALU_DEP_2) | instskip(NEXT) | instid1(VALU_DEP_2)
	v_mad_u32 v23, 0x1ffff, v11, v23
	v_mul_u64_e32 v[24:25], 0x400101, v[0:1]
	s_delay_alu instid0(VALU_DEP_1) | instskip(NEXT) | instid1(VALU_DEP_1)
	v_mov_b32_e32 v0, v25
	v_mad_nc_u64_u32 v[10:11], 0x400101, v23, v[0:1]
	s_delay_alu instid0(VALU_DEP_1) | instskip(NEXT) | instid1(VALU_DEP_1)
	v_dual_mov_b32 v0, v11 :: v_dual_mov_b32 v11, v1
	v_mad_nc_u64_u32 v[10:11], 0x40010, v22, v[10:11]
	s_delay_alu instid0(VALU_DEP_1) | instskip(NEXT) | instid1(VALU_DEP_1)
	v_dual_mov_b32 v10, v11 :: v_dual_mov_b32 v11, v1
	v_add_nc_u64_e32 v[10:11], v[0:1], v[10:11]
	s_delay_alu instid0(VALU_DEP_1) | instskip(NEXT) | instid1(VALU_DEP_1)
	v_mad_nc_u64_u32 v[10:11], 0x40010, v23, v[10:11]
	v_sub_nc_u64_e32 v[24:25], v[22:23], v[10:11]
	s_delay_alu instid0(VALU_DEP_1) | instskip(NEXT) | instid1(VALU_DEP_1)
	v_lshrrev_b64 v[24:25], 1, v[24:25]
	v_add_nc_u64_e32 v[10:11], v[24:25], v[10:11]
	s_delay_alu instid0(VALU_DEP_1) | instskip(NEXT) | instid1(VALU_DEP_1)
	v_lshrrev_b64 v[10:11], 13, v[10:11]
	v_mul_u64_e32 v[10:11], 0x3fff, v[10:11]
	s_delay_alu instid0(VALU_DEP_1) | instskip(NEXT) | instid1(VALU_DEP_1)
	v_sub_nc_u64_e32 v[10:11], v[22:23], v[10:11]
	v_cmp_eq_u64_e32 vcc_lo, v[10:11], v[6:7]
	s_or_not1_b32 s6, vcc_lo, exec_lo
.LBB0_27:                               ;   in Loop: Header=BB0_3 Depth=1
	s_or_b32 exec_lo, exec_lo, s5
	s_delay_alu instid0(SALU_CYCLE_1) | instskip(SKIP_1) | instid1(SALU_CYCLE_1)
	s_and_not1_b32 s0, s0, exec_lo
	s_and_b32 s5, s6, exec_lo
	s_or_b32 s0, s0, s5
	s_or_b32 exec_lo, exec_lo, s1
	s_and_saveexec_b32 s5, s0
	s_cbranch_execz .LBB0_2
.LBB0_28:                               ;   in Loop: Header=BB0_3 Depth=1
	v_add_nc_u16 v0, v21, 1
	v_add_nc_u16 v9, v21, -14
	s_mov_b32 s6, exec_lo
	s_delay_alu instid0(VALU_DEP_2) | instskip(NEXT) | instid1(VALU_DEP_1)
	v_bfe_i32 v0, v0, 0, 8
	v_cmp_gt_i16_e32 vcc_lo, 8, v0
	v_cmpx_ne_u64_e32 0, v[2:3]
	s_cbranch_execz .LBB0_34
; %bb.29:                               ;   in Loop: Header=BB0_3 Depth=1
	v_ctz_i32_b32_e32 v2, v2
	v_ctz_i32_b32_e32 v3, v3
	s_mov_b32 s7, exec_lo
	s_delay_alu instid0(VALU_DEP_1) | instskip(NEXT) | instid1(VALU_DEP_1)
	v_add_min_u32_e64 v2, v3, 32, v2
	v_add_nc_u16 v2, v9, v2
	s_delay_alu instid0(VALU_DEP_1) | instskip(NEXT) | instid1(VALU_DEP_1)
	v_and_b32_e32 v3, 0xff, v2
	v_cmpx_gt_u16_e32 7, v3
	s_cbranch_execz .LBB0_33
; %bb.30:                               ;   in Loop: Header=BB0_3 Depth=1
	v_lshrrev_b32_e32 v10, v2, v8
	v_cmp_ne_u16_e64 s0, 0, v3
	s_delay_alu instid0(VALU_DEP_2) | instskip(SKIP_1) | instid1(VALU_DEP_1)
	v_and_b32_e32 v10, 1, v10
	s_or_b32 s0, vcc_lo, s0
	v_cmp_eq_u32_e64 s1, 1, v10
	s_and_b32 s1, s0, s1
	s_delay_alu instid0(SALU_CYCLE_1)
	s_and_saveexec_b32 s0, s1
	s_cbranch_execz .LBB0_32
; %bb.31:                               ;   in Loop: Header=BB0_3 Depth=1
	v_mov_b32_e32 v17, v19
	ds_store_b8 v20, v0
	ds_store_b8 v20, v2 offset:1
	ds_store_b8 v20, v1 offset:2
	ds_store_b8 v20, v18 offset:3
.LBB0_32:                               ;   in Loop: Header=BB0_3 Depth=1
	s_or_b32 exec_lo, exec_lo, s0
.LBB0_33:                               ;   in Loop: Header=BB0_3 Depth=1
	s_delay_alu instid0(SALU_CYCLE_1)
	s_or_b32 exec_lo, exec_lo, s7
.LBB0_34:                               ;   in Loop: Header=BB0_3 Depth=1
	s_delay_alu instid0(SALU_CYCLE_1) | instskip(NEXT) | instid1(SALU_CYCLE_1)
	s_or_b32 exec_lo, exec_lo, s6
	s_mov_b32 s6, exec_lo
	v_cmpx_ne_u64_e32 0, v[4:5]
	s_cbranch_execz .LBB0_40
; %bb.35:                               ;   in Loop: Header=BB0_3 Depth=1
	v_ctz_i32_b32_e32 v2, v4
	v_ctz_i32_b32_e32 v3, v5
	s_mov_b32 s7, exec_lo
	s_delay_alu instid0(VALU_DEP_1) | instskip(NEXT) | instid1(VALU_DEP_1)
	v_add_min_u32_e64 v2, v3, 32, v2
	v_add_nc_u16 v2, v9, v2
	s_delay_alu instid0(VALU_DEP_1) | instskip(NEXT) | instid1(VALU_DEP_1)
	v_and_b32_e32 v3, 0xff, v2
	v_cmpx_gt_u16_e32 7, v3
	s_cbranch_execz .LBB0_39
; %bb.36:                               ;   in Loop: Header=BB0_3 Depth=1
	v_lshrrev_b32_e32 v4, v2, v8
	v_cmp_ne_u16_e64 s0, 0, v3
	s_delay_alu instid0(VALU_DEP_2) | instskip(SKIP_1) | instid1(VALU_DEP_1)
	v_and_b32_e32 v4, 1, v4
	s_or_b32 s0, vcc_lo, s0
	v_cmp_eq_u32_e64 s1, 1, v4
	s_and_b32 s1, s0, s1
	s_delay_alu instid0(SALU_CYCLE_1)
	s_and_saveexec_b32 s0, s1
	s_cbranch_execz .LBB0_38
; %bb.37:                               ;   in Loop: Header=BB0_3 Depth=1
	v_dual_add_nc_u32 v3, v14, v17 :: v_dual_add_nc_u32 v17, 4, v17
	ds_store_b8 v3, v0
	ds_store_b8 v3, v2 offset:1
	ds_store_b8 v3, v16 offset:2
	;; [unrolled: 1-line block ×3, first 2 shown]
.LBB0_38:                               ;   in Loop: Header=BB0_3 Depth=1
	s_or_b32 exec_lo, exec_lo, s0
.LBB0_39:                               ;   in Loop: Header=BB0_3 Depth=1
	s_delay_alu instid0(SALU_CYCLE_1)
	s_or_b32 exec_lo, exec_lo, s7
.LBB0_40:                               ;   in Loop: Header=BB0_3 Depth=1
	s_delay_alu instid0(SALU_CYCLE_1) | instskip(SKIP_2) | instid1(VALU_DEP_1)
	s_or_b32 exec_lo, exec_lo, s6
	v_bfe_i32 v2, v18, 0, 8
	s_mov_b32 s0, exec_lo
	v_cmpx_gt_i16_e32 7, v2
	s_cbranch_execz .LBB0_1
; %bb.41:                               ;   in Loop: Header=BB0_3 Depth=1
	v_lshlrev_b16 v2, 8, v18
	v_or_b32_e32 v0, 0xffffff00, v0
	v_dual_add_nc_u32 v4, v14, v17 :: v_dual_add_nc_u32 v17, 8, v17
	s_delay_alu instid0(VALU_DEP_3) | instskip(NEXT) | instid1(VALU_DEP_3)
	v_or_b32_e32 v2, 1, v2
	v_and_b32_e32 v0, 0xffff, v0
	s_delay_alu instid0(VALU_DEP_2) | instskip(NEXT) | instid1(VALU_DEP_2)
	v_lshlrev_b32_e32 v2, 16, v2
	v_lshl_or_b32 v3, v18, 24, v0
	s_delay_alu instid0(VALU_DEP_2)
	v_or_b32_e32 v2, v0, v2
	ds_store_b64 v4, v[2:3]
	s_branch .LBB0_1
.LBB0_42:
	s_endpgm
	.section	.rodata,"a",@progbits
	.p2align	6, 0x0
	.amdhsa_kernel _Z7dfs_gpuILi7EEvPl
		.amdhsa_group_segment_fixed_size 1904
		.amdhsa_private_segment_fixed_size 0
		.amdhsa_kernarg_size 8
		.amdhsa_user_sgpr_count 2
		.amdhsa_user_sgpr_dispatch_ptr 0
		.amdhsa_user_sgpr_queue_ptr 0
		.amdhsa_user_sgpr_kernarg_segment_ptr 1
		.amdhsa_user_sgpr_dispatch_id 0
		.amdhsa_user_sgpr_kernarg_preload_length 0
		.amdhsa_user_sgpr_kernarg_preload_offset 0
		.amdhsa_user_sgpr_private_segment_size 0
		.amdhsa_wavefront_size32 1
		.amdhsa_uses_dynamic_stack 0
		.amdhsa_enable_private_segment 0
		.amdhsa_system_sgpr_workgroup_id_x 1
		.amdhsa_system_sgpr_workgroup_id_y 0
		.amdhsa_system_sgpr_workgroup_id_z 0
		.amdhsa_system_sgpr_workgroup_info 0
		.amdhsa_system_vgpr_workitem_id 0
		.amdhsa_next_free_vgpr 26
		.amdhsa_next_free_sgpr 8
		.amdhsa_named_barrier_count 0
		.amdhsa_reserve_vcc 1
		.amdhsa_float_round_mode_32 0
		.amdhsa_float_round_mode_16_64 0
		.amdhsa_float_denorm_mode_32 3
		.amdhsa_float_denorm_mode_16_64 3
		.amdhsa_fp16_overflow 0
		.amdhsa_memory_ordered 1
		.amdhsa_forward_progress 1
		.amdhsa_inst_pref_size 13
		.amdhsa_round_robin_scheduling 0
		.amdhsa_exception_fp_ieee_invalid_op 0
		.amdhsa_exception_fp_denorm_src 0
		.amdhsa_exception_fp_ieee_div_zero 0
		.amdhsa_exception_fp_ieee_overflow 0
		.amdhsa_exception_fp_ieee_underflow 0
		.amdhsa_exception_fp_ieee_inexact 0
		.amdhsa_exception_int_div_zero 0
	.end_amdhsa_kernel
	.section	.text._Z7dfs_gpuILi7EEvPl,"axG",@progbits,_Z7dfs_gpuILi7EEvPl,comdat
.Lfunc_end0:
	.size	_Z7dfs_gpuILi7EEvPl, .Lfunc_end0-_Z7dfs_gpuILi7EEvPl
                                        ; -- End function
	.set _Z7dfs_gpuILi7EEvPl.num_vgpr, 26
	.set _Z7dfs_gpuILi7EEvPl.num_agpr, 0
	.set _Z7dfs_gpuILi7EEvPl.numbered_sgpr, 8
	.set _Z7dfs_gpuILi7EEvPl.num_named_barrier, 0
	.set _Z7dfs_gpuILi7EEvPl.private_seg_size, 0
	.set _Z7dfs_gpuILi7EEvPl.uses_vcc, 1
	.set _Z7dfs_gpuILi7EEvPl.uses_flat_scratch, 0
	.set _Z7dfs_gpuILi7EEvPl.has_dyn_sized_stack, 0
	.set _Z7dfs_gpuILi7EEvPl.has_recursion, 0
	.set _Z7dfs_gpuILi7EEvPl.has_indirect_call, 0
	.section	.AMDGPU.csdata,"",@progbits
; Kernel info:
; codeLenInByte = 1664
; TotalNumSgprs: 10
; NumVgprs: 26
; ScratchSize: 0
; MemoryBound: 0
; FloatMode: 240
; IeeeMode: 1
; LDSByteSize: 1904 bytes/workgroup (compile time only)
; SGPRBlocks: 0
; VGPRBlocks: 1
; NumSGPRsForWavesPerEU: 10
; NumVGPRsForWavesPerEU: 26
; NamedBarCnt: 0
; Occupancy: 16
; WaveLimiterHint : 0
; COMPUTE_PGM_RSRC2:SCRATCH_EN: 0
; COMPUTE_PGM_RSRC2:USER_SGPR: 2
; COMPUTE_PGM_RSRC2:TRAP_HANDLER: 0
; COMPUTE_PGM_RSRC2:TGID_X_EN: 1
; COMPUTE_PGM_RSRC2:TGID_Y_EN: 0
; COMPUTE_PGM_RSRC2:TGID_Z_EN: 0
; COMPUTE_PGM_RSRC2:TIDIG_COMP_CNT: 0
	.section	.text._Z7dfs_gpuILi8EEvPl,"axG",@progbits,_Z7dfs_gpuILi8EEvPl,comdat
	.protected	_Z7dfs_gpuILi8EEvPl     ; -- Begin function _Z7dfs_gpuILi8EEvPl
	.globl	_Z7dfs_gpuILi8EEvPl
	.p2align	8
	.type	_Z7dfs_gpuILi8EEvPl,@function
_Z7dfs_gpuILi8EEvPl:                    ; @_Z7dfs_gpuILi8EEvPl
; %bb.0:
	s_bfe_u32 s2, ttmp6, 0x4000c
	s_and_b32 s3, ttmp6, 15
	s_add_co_i32 s2, s2, 1
	s_getreg_b32 s4, hwreg(HW_REG_IB_STS2, 6, 4)
	s_mul_i32 s2, ttmp9, s2
	v_dual_mov_b32 v1, 0 :: v_dual_mov_b32 v8, 0xff
	s_add_co_i32 s5, s3, s2
	s_load_b64 s[2:3], s[0:1], 0x0
	s_cmp_eq_u32 s4, 0
	s_wait_xcnt 0x0
	s_movk_i32 s1, 0x44
	s_cselect_b32 s0, ttmp9, s5
	v_mad_u32_u24 v12, v0, s1, 0x740
	v_lshl_add_u32 v6, s0, 2, v0
	s_movk_i32 s0, 0xc0
	v_mul_u32_u24_e32 v4, 0x44, v0
	v_mul_u32_u24_e32 v13, 0x110, v0
	v_mad_u32_u24 v14, v0, s0, 0x440
	v_lshl_add_u32 v15, v0, 3, 0x850
	v_dual_mov_b32 v3, v1 :: v_dual_ashrrev_i32 v7, 31, v6
	v_dual_mov_b32 v9, 0xff00 :: v_dual_mov_b32 v16, 1
	v_mov_b32_e32 v19, 4
	v_mul_u32_u24_e32 v5, 0xc0, v0
	v_dual_mov_b32 v0, v1 :: v_dual_mov_b32 v2, v1
	s_mov_b32 s4, 0
	ds_store_b32 v4, v8 offset:1856
	ds_store_b128 v13, v[0:3]
	ds_store_b32 v5, v9 offset:1088
	s_branch .LBB1_3
.LBB1_1:                                ;   in Loop: Header=BB1_3 Depth=1
	s_or_b32 exec_lo, exec_lo, s0
.LBB1_2:                                ;   in Loop: Header=BB1_3 Depth=1
	s_delay_alu instid0(SALU_CYCLE_1) | instskip(SKIP_3) | instid1(SALU_CYCLE_1)
	s_or_b32 exec_lo, exec_lo, s5
	v_cmp_eq_u32_e32 vcc_lo, 0, v17
	v_mov_b32_e32 v19, v17
	s_or_b32 s4, vcc_lo, s4
	s_and_not1_b32 exec_lo, exec_lo, s4
	s_cbranch_execz .LBB1_42
.LBB1_3:                                ; =>This Inner Loop Header: Depth=1
	s_delay_alu instid0(VALU_DEP_1) | instskip(NEXT) | instid1(VALU_DEP_1)
	v_dual_add_nc_u32 v17, -4, v19 :: v_dual_add_nc_u32 v0, v14, v19
	v_dual_add_nc_u32 v20, v14, v17 :: v_dual_add_nc_u32 v2, -2, v0
	v_add_nc_u32_e32 v8, -1, v0
	ds_load_u8 v21, v20
	s_wait_dscnt 0x0
	v_bfe_i32 v11, v21, 0, 8
	s_delay_alu instid0(VALU_DEP_1)
	v_dual_add_nc_u32 v3, -3, v0 :: v_dual_lshlrev_b32 v4, 4, v11
	ds_load_u8 v22, v2
	ds_load_i8 v10, v3
	v_lshl_add_u32 v0, v11, 2, v12
	v_add_nc_u32_e32 v9, v13, v4
	ds_load_b128 v[2:5], v9
	ds_load_u8 v18, v8
	ds_load_b32 v8, v0
	s_wait_dscnt 0x4
	v_cmp_ne_u16_e64 s0, 0, v22
	s_wait_dscnt 0x3
	v_cmp_gt_i16_e32 vcc_lo, 0, v10
	s_wait_dscnt 0x2
	ds_store_b128 v9, v[2:5] offset:16
	s_and_saveexec_b32 s1, s0
	s_delay_alu instid0(SALU_CYCLE_1)
	s_xor_b32 s0, exec_lo, s1
	s_cbranch_execz .LBB1_9
; %bb.4:                                ;   in Loop: Header=BB1_3 Depth=1
	s_and_saveexec_b32 s1, vcc_lo
	s_delay_alu instid0(SALU_CYCLE_1)
	s_xor_b32 s1, exec_lo, s1
	s_cbranch_execz .LBB1_6
; %bb.5:                                ;   in Loop: Header=BB1_3 Depth=1
	v_lshrrev_b64 v[10:11], v11, 0x8000
	s_wait_dscnt 0x2
	v_add_nc_u16 v18, v18, 1
	s_delay_alu instid0(VALU_DEP_2) | instskip(NEXT) | instid1(VALU_DEP_3)
	v_or_b32_e32 v5, v5, v11
	v_or_b32_e32 v4, v4, v10
                                        ; implicit-def: $vgpr10
	ds_store_b64 v9, v[4:5] offset:24
                                        ; implicit-def: $vgpr9
.LBB1_6:                                ;   in Loop: Header=BB1_3 Depth=1
	s_and_not1_saveexec_b32 s1, s1
	s_cbranch_execz .LBB1_8
; %bb.7:                                ;   in Loop: Header=BB1_3 Depth=1
	v_bfe_i32 v22, v10, 0, 16
	v_add_nc_u64_e32 v[10:11], -1, v[4:5]
	s_delay_alu instid0(VALU_DEP_2) | instskip(NEXT) | instid1(VALU_DEP_2)
	v_lshlrev_b32_e64 v23, v22, 1
	v_dual_add_nc_u32 v22, v15, v22 :: v_dual_bitop2_b32 v4, v10, v4 bitop3:0x40
	s_delay_alu instid0(VALU_DEP_3) | instskip(SKIP_1) | instid1(VALU_DEP_3)
	v_and_b32_e32 v5, v11, v5
	s_wait_dscnt 0x1
	v_xor_b32_e32 v8, v8, v23
	ds_store_b8 v22, v21
	ds_store_b64 v9, v[4:5] offset:24
.LBB1_8:                                ;   in Loop: Header=BB1_3 Depth=1
	s_or_b32 exec_lo, exec_lo, s1
                                        ; implicit-def: $vgpr10
                                        ; implicit-def: $vgpr9
                                        ; implicit-def: $vgpr11
.LBB1_9:                                ;   in Loop: Header=BB1_3 Depth=1
	s_and_not1_saveexec_b32 s0, s0
	s_cbranch_execz .LBB1_15
; %bb.10:                               ;   in Loop: Header=BB1_3 Depth=1
	s_and_saveexec_b32 s1, vcc_lo
	s_delay_alu instid0(SALU_CYCLE_1)
	s_xor_b32 s1, exec_lo, s1
	s_cbranch_execz .LBB1_12
; %bb.11:                               ;   in Loop: Header=BB1_3 Depth=1
	v_lshrrev_b64 v[10:11], v11, 0x8000
	s_wait_dscnt 0x2
	v_add_nc_u16 v18, v18, 1
	s_delay_alu instid0(VALU_DEP_2) | instskip(NEXT) | instid1(VALU_DEP_3)
	v_or_b32_e32 v3, v11, v3
	v_or_b32_e32 v2, v10, v2
                                        ; implicit-def: $vgpr10
	ds_store_b64 v9, v[2:3] offset:16
                                        ; implicit-def: $vgpr9
.LBB1_12:                               ;   in Loop: Header=BB1_3 Depth=1
	s_and_not1_saveexec_b32 s1, s1
	s_cbranch_execz .LBB1_14
; %bb.13:                               ;   in Loop: Header=BB1_3 Depth=1
	v_bfe_i32 v22, v10, 0, 16
	v_add_nc_u64_e32 v[10:11], -1, v[2:3]
	s_delay_alu instid0(VALU_DEP_2) | instskip(SKIP_1) | instid1(VALU_DEP_3)
	v_lshlrev_b32_e64 v23, v22, 1
	v_add_nc_u32_e32 v22, v15, v22
	v_and_b32_e32 v3, v11, v3
	s_delay_alu instid0(VALU_DEP_4)
	v_and_b32_e32 v2, v10, v2
	s_wait_dscnt 0x1
	v_xor_b32_e32 v8, v8, v23
	ds_store_b8 v22, v21
	ds_store_b64 v9, v[2:3] offset:16
.LBB1_14:                               ;   in Loop: Header=BB1_3 Depth=1
	s_or_b32 exec_lo, exec_lo, s1
.LBB1_15:                               ;   in Loop: Header=BB1_3 Depth=1
	s_delay_alu instid0(SALU_CYCLE_1)
	s_or_b32 exec_lo, exec_lo, s0
	s_wait_dscnt 0x1
	ds_store_b32 v0, v8 offset:4
	v_and_b32_e32 v0, 0xff, v21
	s_mov_b32 s0, 0
	s_mov_b32 s1, exec_lo
	s_delay_alu instid0(VALU_DEP_1)
	v_cmpx_lt_i16_e32 14, v0
	s_xor_b32 s1, exec_lo, s1
	s_cbranch_execnz .LBB1_18
; %bb.16:                               ;   in Loop: Header=BB1_3 Depth=1
	s_and_not1_saveexec_b32 s1, s1
	s_cbranch_execnz .LBB1_25
.LBB1_17:                               ;   in Loop: Header=BB1_3 Depth=1
	s_or_b32 exec_lo, exec_lo, s1
	s_and_saveexec_b32 s5, s0
	s_cbranch_execz .LBB1_2
	s_branch .LBB1_28
.LBB1_18:                               ;   in Loop: Header=BB1_3 Depth=1
	s_mov_b32 s5, -1
	s_mov_b32 s0, exec_lo
	v_cmpx_eq_u16_e32 15, v0
	s_cbranch_execz .LBB1_24
; %bb.19:                               ;   in Loop: Header=BB1_3 Depth=1
	s_mov_b32 s6, exec_lo
	s_mov_b32 s5, exec_lo
	v_mbcnt_lo_u32_b32 v0, s6, 0
                                        ; implicit-def: $vgpr10_vgpr11
	s_delay_alu instid0(VALU_DEP_1)
	v_cmpx_eq_u32_e32 0, v0
	s_cbranch_execz .LBB1_21
; %bb.20:                               ;   in Loop: Header=BB1_3 Depth=1
	s_bcnt1_i32_b32 s6, s6
	s_delay_alu instid0(SALU_CYCLE_1)
	v_dual_mov_b32 v11, v1 :: v_dual_mov_b32 v10, s6
	s_wait_kmcnt 0x0
	global_atomic_add_u64 v[10:11], v1, v[10:11], s[2:3] th:TH_ATOMIC_RETURN scope:SCOPE_DEV
.LBB1_21:                               ;   in Loop: Header=BB1_3 Depth=1
	s_wait_xcnt 0x0
	s_or_b32 exec_lo, exec_lo, s5
	s_wait_loadcnt 0x0
	v_readfirstlane_b32 s7, v11
	v_readfirstlane_b32 s6, v10
	s_mov_b32 s5, exec_lo
	v_add_nc_u64_e32 v[10:11], s[6:7], v[0:1]
	s_delay_alu instid0(VALU_DEP_1)
	v_cmpx_gt_i64_e32 0x5f5e100, v[10:11]
	s_cbranch_execz .LBB1_23
; %bb.22:                               ;   in Loop: Header=BB1_3 Depth=1
	ds_load_b64 v[22:23], v15
	s_wait_kmcnt 0x0
	v_lshl_add_u64 v[10:11], v[10:11], 3, s[2:3]
	s_wait_dscnt 0x0
	global_store_b64 v[10:11], v[22:23], off offset:8
.LBB1_23:                               ;   in Loop: Header=BB1_3 Depth=1
	s_wait_xcnt 0x0
	s_or_b32 exec_lo, exec_lo, s5
	s_delay_alu instid0(SALU_CYCLE_1)
	s_xor_b32 s5, exec_lo, -1
.LBB1_24:                               ;   in Loop: Header=BB1_3 Depth=1
	s_or_b32 exec_lo, exec_lo, s0
	s_delay_alu instid0(SALU_CYCLE_1)
	s_and_b32 s0, s5, exec_lo
                                        ; implicit-def: $vgpr0
	s_and_not1_saveexec_b32 s1, s1
	s_cbranch_execz .LBB1_17
.LBB1_25:                               ;   in Loop: Header=BB1_3 Depth=1
	s_mov_b32 s6, -1
	s_mov_b32 s5, exec_lo
	v_cmpx_eq_u16_e32 2, v0
	s_cbranch_execz .LBB1_27
; %bb.26:                               ;   in Loop: Header=BB1_3 Depth=1
	v_sub_nc_u64_e32 v[10:11], v[4:5], v[2:3]
	v_ashrrev_i32_e32 v9, 31, v8
	s_delay_alu instid0(VALU_DEP_1) | instskip(NEXT) | instid1(VALU_DEP_1)
	v_mad_nc_u64_u32 v[22:23], 0x1ffff, v10, v[8:9]
	v_mov_b32_e32 v0, v22
	s_delay_alu instid0(VALU_DEP_2) | instskip(NEXT) | instid1(VALU_DEP_2)
	v_mad_u32 v23, 0x1ffff, v11, v23
	v_mul_u64_e32 v[24:25], 0x400101, v[0:1]
	s_delay_alu instid0(VALU_DEP_1) | instskip(NEXT) | instid1(VALU_DEP_1)
	v_mov_b32_e32 v0, v25
	v_mad_nc_u64_u32 v[10:11], 0x400101, v23, v[0:1]
	s_delay_alu instid0(VALU_DEP_1) | instskip(NEXT) | instid1(VALU_DEP_1)
	v_dual_mov_b32 v0, v11 :: v_dual_mov_b32 v11, v1
	v_mad_nc_u64_u32 v[10:11], 0x40010, v22, v[10:11]
	s_delay_alu instid0(VALU_DEP_1) | instskip(NEXT) | instid1(VALU_DEP_1)
	v_dual_mov_b32 v10, v11 :: v_dual_mov_b32 v11, v1
	v_add_nc_u64_e32 v[10:11], v[0:1], v[10:11]
	s_delay_alu instid0(VALU_DEP_1) | instskip(NEXT) | instid1(VALU_DEP_1)
	v_mad_nc_u64_u32 v[10:11], 0x40010, v23, v[10:11]
	v_sub_nc_u64_e32 v[24:25], v[22:23], v[10:11]
	s_delay_alu instid0(VALU_DEP_1) | instskip(NEXT) | instid1(VALU_DEP_1)
	v_lshrrev_b64 v[24:25], 1, v[24:25]
	v_add_nc_u64_e32 v[10:11], v[24:25], v[10:11]
	s_delay_alu instid0(VALU_DEP_1) | instskip(NEXT) | instid1(VALU_DEP_1)
	v_lshrrev_b64 v[10:11], 13, v[10:11]
	v_mul_u64_e32 v[10:11], 0x3fff, v[10:11]
	s_delay_alu instid0(VALU_DEP_1) | instskip(NEXT) | instid1(VALU_DEP_1)
	v_sub_nc_u64_e32 v[10:11], v[22:23], v[10:11]
	v_cmp_eq_u64_e32 vcc_lo, v[10:11], v[6:7]
	s_or_not1_b32 s6, vcc_lo, exec_lo
.LBB1_27:                               ;   in Loop: Header=BB1_3 Depth=1
	s_or_b32 exec_lo, exec_lo, s5
	s_delay_alu instid0(SALU_CYCLE_1) | instskip(SKIP_1) | instid1(SALU_CYCLE_1)
	s_and_not1_b32 s0, s0, exec_lo
	s_and_b32 s5, s6, exec_lo
	s_or_b32 s0, s0, s5
	s_or_b32 exec_lo, exec_lo, s1
	s_and_saveexec_b32 s5, s0
	s_cbranch_execz .LBB1_2
.LBB1_28:                               ;   in Loop: Header=BB1_3 Depth=1
	v_add_nc_u16 v0, v21, 1
	v_add_nc_u16 v9, v21, -16
	s_mov_b32 s6, exec_lo
	s_delay_alu instid0(VALU_DEP_2) | instskip(NEXT) | instid1(VALU_DEP_1)
	v_bfe_i32 v0, v0, 0, 8
	v_cmp_gt_i16_e32 vcc_lo, 9, v0
	v_cmpx_ne_u64_e32 0, v[2:3]
	s_cbranch_execz .LBB1_34
; %bb.29:                               ;   in Loop: Header=BB1_3 Depth=1
	v_ctz_i32_b32_e32 v2, v2
	v_ctz_i32_b32_e32 v3, v3
	s_mov_b32 s7, exec_lo
	s_delay_alu instid0(VALU_DEP_1) | instskip(NEXT) | instid1(VALU_DEP_1)
	v_add_min_u32_e64 v2, v3, 32, v2
	v_add_nc_u16 v2, v9, v2
	s_delay_alu instid0(VALU_DEP_1) | instskip(NEXT) | instid1(VALU_DEP_1)
	v_and_b32_e32 v3, 0xff, v2
	v_cmpx_gt_u16_e32 8, v3
	s_cbranch_execz .LBB1_33
; %bb.30:                               ;   in Loop: Header=BB1_3 Depth=1
	v_lshrrev_b32_e32 v10, v2, v8
	v_cmp_ne_u16_e64 s0, 0, v3
	s_delay_alu instid0(VALU_DEP_2) | instskip(SKIP_1) | instid1(VALU_DEP_1)
	v_and_b32_e32 v10, 1, v10
	s_or_b32 s0, vcc_lo, s0
	v_cmp_eq_u32_e64 s1, 1, v10
	s_and_b32 s1, s0, s1
	s_delay_alu instid0(SALU_CYCLE_1)
	s_and_saveexec_b32 s0, s1
	s_cbranch_execz .LBB1_32
; %bb.31:                               ;   in Loop: Header=BB1_3 Depth=1
	v_mov_b32_e32 v17, v19
	ds_store_b8 v20, v0
	ds_store_b8 v20, v2 offset:1
	ds_store_b8 v20, v1 offset:2
	;; [unrolled: 1-line block ×3, first 2 shown]
.LBB1_32:                               ;   in Loop: Header=BB1_3 Depth=1
	s_or_b32 exec_lo, exec_lo, s0
.LBB1_33:                               ;   in Loop: Header=BB1_3 Depth=1
	s_delay_alu instid0(SALU_CYCLE_1)
	s_or_b32 exec_lo, exec_lo, s7
.LBB1_34:                               ;   in Loop: Header=BB1_3 Depth=1
	s_delay_alu instid0(SALU_CYCLE_1) | instskip(NEXT) | instid1(SALU_CYCLE_1)
	s_or_b32 exec_lo, exec_lo, s6
	s_mov_b32 s6, exec_lo
	v_cmpx_ne_u64_e32 0, v[4:5]
	s_cbranch_execz .LBB1_40
; %bb.35:                               ;   in Loop: Header=BB1_3 Depth=1
	v_ctz_i32_b32_e32 v2, v4
	v_ctz_i32_b32_e32 v3, v5
	s_mov_b32 s7, exec_lo
	s_delay_alu instid0(VALU_DEP_1) | instskip(NEXT) | instid1(VALU_DEP_1)
	v_add_min_u32_e64 v2, v3, 32, v2
	v_add_nc_u16 v2, v9, v2
	s_delay_alu instid0(VALU_DEP_1) | instskip(NEXT) | instid1(VALU_DEP_1)
	v_and_b32_e32 v3, 0xff, v2
	v_cmpx_gt_u16_e32 8, v3
	s_cbranch_execz .LBB1_39
; %bb.36:                               ;   in Loop: Header=BB1_3 Depth=1
	v_lshrrev_b32_e32 v4, v2, v8
	v_cmp_ne_u16_e64 s0, 0, v3
	s_delay_alu instid0(VALU_DEP_2) | instskip(SKIP_1) | instid1(VALU_DEP_1)
	v_and_b32_e32 v4, 1, v4
	s_or_b32 s0, vcc_lo, s0
	v_cmp_eq_u32_e64 s1, 1, v4
	s_and_b32 s1, s0, s1
	s_delay_alu instid0(SALU_CYCLE_1)
	s_and_saveexec_b32 s0, s1
	s_cbranch_execz .LBB1_38
; %bb.37:                               ;   in Loop: Header=BB1_3 Depth=1
	v_dual_add_nc_u32 v3, v14, v17 :: v_dual_add_nc_u32 v17, 4, v17
	ds_store_b8 v3, v0
	ds_store_b8 v3, v2 offset:1
	ds_store_b8 v3, v16 offset:2
	ds_store_b8 v3, v18 offset:3
.LBB1_38:                               ;   in Loop: Header=BB1_3 Depth=1
	s_or_b32 exec_lo, exec_lo, s0
.LBB1_39:                               ;   in Loop: Header=BB1_3 Depth=1
	s_delay_alu instid0(SALU_CYCLE_1)
	s_or_b32 exec_lo, exec_lo, s7
.LBB1_40:                               ;   in Loop: Header=BB1_3 Depth=1
	s_delay_alu instid0(SALU_CYCLE_1) | instskip(SKIP_2) | instid1(VALU_DEP_1)
	s_or_b32 exec_lo, exec_lo, s6
	v_bfe_i32 v2, v18, 0, 8
	s_mov_b32 s0, exec_lo
	v_cmpx_gt_i16_e32 8, v2
	s_cbranch_execz .LBB1_1
; %bb.41:                               ;   in Loop: Header=BB1_3 Depth=1
	v_lshlrev_b16 v2, 8, v18
	v_or_b32_e32 v0, 0xffffff00, v0
	v_dual_add_nc_u32 v4, v14, v17 :: v_dual_add_nc_u32 v17, 8, v17
	s_delay_alu instid0(VALU_DEP_3) | instskip(NEXT) | instid1(VALU_DEP_3)
	v_or_b32_e32 v2, 1, v2
	v_and_b32_e32 v0, 0xffff, v0
	s_delay_alu instid0(VALU_DEP_2) | instskip(NEXT) | instid1(VALU_DEP_2)
	v_lshlrev_b32_e32 v2, 16, v2
	v_lshl_or_b32 v3, v18, 24, v0
	s_delay_alu instid0(VALU_DEP_2)
	v_or_b32_e32 v2, v0, v2
	ds_store_b64 v4, v[2:3]
	s_branch .LBB1_1
.LBB1_42:
	s_endpgm
	.section	.rodata,"a",@progbits
	.p2align	6, 0x0
	.amdhsa_kernel _Z7dfs_gpuILi8EEvPl
		.amdhsa_group_segment_fixed_size 2160
		.amdhsa_private_segment_fixed_size 0
		.amdhsa_kernarg_size 8
		.amdhsa_user_sgpr_count 2
		.amdhsa_user_sgpr_dispatch_ptr 0
		.amdhsa_user_sgpr_queue_ptr 0
		.amdhsa_user_sgpr_kernarg_segment_ptr 1
		.amdhsa_user_sgpr_dispatch_id 0
		.amdhsa_user_sgpr_kernarg_preload_length 0
		.amdhsa_user_sgpr_kernarg_preload_offset 0
		.amdhsa_user_sgpr_private_segment_size 0
		.amdhsa_wavefront_size32 1
		.amdhsa_uses_dynamic_stack 0
		.amdhsa_enable_private_segment 0
		.amdhsa_system_sgpr_workgroup_id_x 1
		.amdhsa_system_sgpr_workgroup_id_y 0
		.amdhsa_system_sgpr_workgroup_id_z 0
		.amdhsa_system_sgpr_workgroup_info 0
		.amdhsa_system_vgpr_workitem_id 0
		.amdhsa_next_free_vgpr 26
		.amdhsa_next_free_sgpr 8
		.amdhsa_named_barrier_count 0
		.amdhsa_reserve_vcc 1
		.amdhsa_float_round_mode_32 0
		.amdhsa_float_round_mode_16_64 0
		.amdhsa_float_denorm_mode_32 3
		.amdhsa_float_denorm_mode_16_64 3
		.amdhsa_fp16_overflow 0
		.amdhsa_memory_ordered 1
		.amdhsa_forward_progress 1
		.amdhsa_inst_pref_size 14
		.amdhsa_round_robin_scheduling 0
		.amdhsa_exception_fp_ieee_invalid_op 0
		.amdhsa_exception_fp_denorm_src 0
		.amdhsa_exception_fp_ieee_div_zero 0
		.amdhsa_exception_fp_ieee_overflow 0
		.amdhsa_exception_fp_ieee_underflow 0
		.amdhsa_exception_fp_ieee_inexact 0
		.amdhsa_exception_int_div_zero 0
	.end_amdhsa_kernel
	.section	.text._Z7dfs_gpuILi8EEvPl,"axG",@progbits,_Z7dfs_gpuILi8EEvPl,comdat
.Lfunc_end1:
	.size	_Z7dfs_gpuILi8EEvPl, .Lfunc_end1-_Z7dfs_gpuILi8EEvPl
                                        ; -- End function
	.set _Z7dfs_gpuILi8EEvPl.num_vgpr, 26
	.set _Z7dfs_gpuILi8EEvPl.num_agpr, 0
	.set _Z7dfs_gpuILi8EEvPl.numbered_sgpr, 8
	.set _Z7dfs_gpuILi8EEvPl.num_named_barrier, 0
	.set _Z7dfs_gpuILi8EEvPl.private_seg_size, 0
	.set _Z7dfs_gpuILi8EEvPl.uses_vcc, 1
	.set _Z7dfs_gpuILi8EEvPl.uses_flat_scratch, 0
	.set _Z7dfs_gpuILi8EEvPl.has_dyn_sized_stack, 0
	.set _Z7dfs_gpuILi8EEvPl.has_recursion, 0
	.set _Z7dfs_gpuILi8EEvPl.has_indirect_call, 0
	.section	.AMDGPU.csdata,"",@progbits
; Kernel info:
; codeLenInByte = 1672
; TotalNumSgprs: 10
; NumVgprs: 26
; ScratchSize: 0
; MemoryBound: 0
; FloatMode: 240
; IeeeMode: 1
; LDSByteSize: 2160 bytes/workgroup (compile time only)
; SGPRBlocks: 0
; VGPRBlocks: 1
; NumSGPRsForWavesPerEU: 10
; NumVGPRsForWavesPerEU: 26
; NamedBarCnt: 0
; Occupancy: 16
; WaveLimiterHint : 0
; COMPUTE_PGM_RSRC2:SCRATCH_EN: 0
; COMPUTE_PGM_RSRC2:USER_SGPR: 2
; COMPUTE_PGM_RSRC2:TRAP_HANDLER: 0
; COMPUTE_PGM_RSRC2:TGID_X_EN: 1
; COMPUTE_PGM_RSRC2:TGID_Y_EN: 0
; COMPUTE_PGM_RSRC2:TGID_Z_EN: 0
; COMPUTE_PGM_RSRC2:TIDIG_COMP_CNT: 0
	.section	.text._Z7dfs_gpuILi11EEvPl,"axG",@progbits,_Z7dfs_gpuILi11EEvPl,comdat
	.protected	_Z7dfs_gpuILi11EEvPl    ; -- Begin function _Z7dfs_gpuILi11EEvPl
	.globl	_Z7dfs_gpuILi11EEvPl
	.p2align	8
	.type	_Z7dfs_gpuILi11EEvPl,@function
_Z7dfs_gpuILi11EEvPl:                   ; @_Z7dfs_gpuILi11EEvPl
; %bb.0:
	s_bfe_u32 s2, ttmp6, 0x4000c
	s_and_b32 s3, ttmp6, 15
	s_add_co_i32 s2, s2, 1
	s_getreg_b32 s4, hwreg(HW_REG_IB_STS2, 6, 4)
	s_mul_i32 s2, ttmp9, s2
	v_dual_mov_b32 v1, 0 :: v_dual_mov_b32 v19, 4
	s_add_co_i32 s5, s3, s2
	s_load_b64 s[2:3], s[0:1], 0x0
	s_cmp_eq_u32 s4, 0
	s_wait_xcnt 0x0
	s_movk_i32 s1, 0x5c
	s_cselect_b32 s0, ttmp9, s5
	v_mad_u32_u24 v12, v0, s1, 0x9e0
	v_lshl_add_u32 v6, s0, 2, v0
	s_movk_i32 s0, 0x108
	v_mul_u32_u24_e32 v4, 0x5c, v0
	v_mul_u32_u24_e32 v13, 0x170, v0
	v_mad_u32_u24 v14, v0, s0, 0x5c0
	v_lshl_add_u32 v15, v0, 4, 0xb50
	v_dual_mov_b32 v8, 0x7ff :: v_dual_mov_b32 v3, v1
	v_dual_mov_b32 v9, 0xff00 :: v_dual_mov_b32 v16, 1
	v_ashrrev_i32_e32 v7, 31, v6
	v_mul_u32_u24_e32 v5, 0x108, v0
	v_dual_mov_b32 v0, v1 :: v_dual_mov_b32 v2, v1
	s_mov_b32 s4, 0
	ds_store_b32 v4, v8 offset:2528
	ds_store_b128 v13, v[0:3]
	ds_store_b32 v5, v9 offset:1472
	s_branch .LBB2_3
.LBB2_1:                                ;   in Loop: Header=BB2_3 Depth=1
	s_or_b32 exec_lo, exec_lo, s0
.LBB2_2:                                ;   in Loop: Header=BB2_3 Depth=1
	s_delay_alu instid0(SALU_CYCLE_1) | instskip(SKIP_3) | instid1(SALU_CYCLE_1)
	s_or_b32 exec_lo, exec_lo, s5
	v_cmp_eq_u32_e32 vcc_lo, 0, v17
	v_mov_b32_e32 v19, v17
	s_or_b32 s4, vcc_lo, s4
	s_and_not1_b32 exec_lo, exec_lo, s4
	s_cbranch_execz .LBB2_42
.LBB2_3:                                ; =>This Inner Loop Header: Depth=1
	s_delay_alu instid0(VALU_DEP_1) | instskip(NEXT) | instid1(VALU_DEP_1)
	v_dual_add_nc_u32 v17, -4, v19 :: v_dual_add_nc_u32 v0, v14, v19
	v_dual_add_nc_u32 v20, v14, v17 :: v_dual_add_nc_u32 v2, -2, v0
	v_add_nc_u32_e32 v8, -1, v0
	ds_load_u8 v21, v20
	s_wait_dscnt 0x0
	v_bfe_i32 v11, v21, 0, 8
	s_delay_alu instid0(VALU_DEP_1)
	v_dual_add_nc_u32 v3, -3, v0 :: v_dual_lshlrev_b32 v4, 4, v11
	ds_load_u8 v22, v2
	ds_load_i8 v10, v3
	v_lshl_add_u32 v0, v11, 2, v12
	v_add_nc_u32_e32 v9, v13, v4
	ds_load_b128 v[2:5], v9
	ds_load_u8 v18, v8
	ds_load_b32 v8, v0
	s_wait_dscnt 0x4
	v_cmp_ne_u16_e64 s0, 0, v22
	s_wait_dscnt 0x3
	v_cmp_gt_i16_e32 vcc_lo, 0, v10
	s_wait_dscnt 0x2
	ds_store_b128 v9, v[2:5] offset:16
	s_and_saveexec_b32 s1, s0
	s_delay_alu instid0(SALU_CYCLE_1)
	s_xor_b32 s0, exec_lo, s1
	s_cbranch_execz .LBB2_9
; %bb.4:                                ;   in Loop: Header=BB2_3 Depth=1
	s_and_saveexec_b32 s1, vcc_lo
	s_delay_alu instid0(SALU_CYCLE_1)
	s_xor_b32 s1, exec_lo, s1
	s_cbranch_execz .LBB2_6
; %bb.5:                                ;   in Loop: Header=BB2_3 Depth=1
	v_lshrrev_b64 v[10:11], v11, 0x200000
	s_wait_dscnt 0x2
	v_add_nc_u16 v18, v18, 1
	s_delay_alu instid0(VALU_DEP_2) | instskip(NEXT) | instid1(VALU_DEP_3)
	v_or_b32_e32 v5, v5, v11
	v_or_b32_e32 v4, v4, v10
                                        ; implicit-def: $vgpr10
	ds_store_b64 v9, v[4:5] offset:24
                                        ; implicit-def: $vgpr9
.LBB2_6:                                ;   in Loop: Header=BB2_3 Depth=1
	s_and_not1_saveexec_b32 s1, s1
	s_cbranch_execz .LBB2_8
; %bb.7:                                ;   in Loop: Header=BB2_3 Depth=1
	v_bfe_i32 v22, v10, 0, 16
	v_add_nc_u64_e32 v[10:11], -1, v[4:5]
	s_delay_alu instid0(VALU_DEP_2) | instskip(NEXT) | instid1(VALU_DEP_2)
	v_lshlrev_b32_e64 v23, v22, 1
	v_dual_add_nc_u32 v22, v15, v22 :: v_dual_bitop2_b32 v4, v10, v4 bitop3:0x40
	s_delay_alu instid0(VALU_DEP_3) | instskip(SKIP_1) | instid1(VALU_DEP_3)
	v_and_b32_e32 v5, v11, v5
	s_wait_dscnt 0x1
	v_xor_b32_e32 v8, v8, v23
	ds_store_b8 v22, v21
	ds_store_b64 v9, v[4:5] offset:24
.LBB2_8:                                ;   in Loop: Header=BB2_3 Depth=1
	s_or_b32 exec_lo, exec_lo, s1
                                        ; implicit-def: $vgpr10
                                        ; implicit-def: $vgpr9
                                        ; implicit-def: $vgpr11
.LBB2_9:                                ;   in Loop: Header=BB2_3 Depth=1
	s_and_not1_saveexec_b32 s0, s0
	s_cbranch_execz .LBB2_15
; %bb.10:                               ;   in Loop: Header=BB2_3 Depth=1
	s_and_saveexec_b32 s1, vcc_lo
	s_delay_alu instid0(SALU_CYCLE_1)
	s_xor_b32 s1, exec_lo, s1
	s_cbranch_execz .LBB2_12
; %bb.11:                               ;   in Loop: Header=BB2_3 Depth=1
	v_lshrrev_b64 v[10:11], v11, 0x200000
	s_wait_dscnt 0x2
	v_add_nc_u16 v18, v18, 1
	s_delay_alu instid0(VALU_DEP_2) | instskip(NEXT) | instid1(VALU_DEP_3)
	v_or_b32_e32 v3, v11, v3
	v_or_b32_e32 v2, v10, v2
                                        ; implicit-def: $vgpr10
	ds_store_b64 v9, v[2:3] offset:16
                                        ; implicit-def: $vgpr9
.LBB2_12:                               ;   in Loop: Header=BB2_3 Depth=1
	s_and_not1_saveexec_b32 s1, s1
	s_cbranch_execz .LBB2_14
; %bb.13:                               ;   in Loop: Header=BB2_3 Depth=1
	v_bfe_i32 v22, v10, 0, 16
	v_add_nc_u64_e32 v[10:11], -1, v[2:3]
	s_delay_alu instid0(VALU_DEP_2) | instskip(SKIP_1) | instid1(VALU_DEP_3)
	v_lshlrev_b32_e64 v23, v22, 1
	v_add_nc_u32_e32 v22, v15, v22
	v_and_b32_e32 v3, v11, v3
	s_delay_alu instid0(VALU_DEP_4)
	v_and_b32_e32 v2, v10, v2
	s_wait_dscnt 0x1
	v_xor_b32_e32 v8, v8, v23
	ds_store_b8 v22, v21
	ds_store_b64 v9, v[2:3] offset:16
.LBB2_14:                               ;   in Loop: Header=BB2_3 Depth=1
	s_or_b32 exec_lo, exec_lo, s1
.LBB2_15:                               ;   in Loop: Header=BB2_3 Depth=1
	s_delay_alu instid0(SALU_CYCLE_1)
	s_or_b32 exec_lo, exec_lo, s0
	s_wait_dscnt 0x1
	ds_store_b32 v0, v8 offset:4
	v_and_b32_e32 v0, 0xff, v21
	s_mov_b32 s0, 0
	s_mov_b32 s1, exec_lo
	s_delay_alu instid0(VALU_DEP_1)
	v_cmpx_lt_i16_e32 20, v0
	s_xor_b32 s1, exec_lo, s1
	s_cbranch_execnz .LBB2_18
; %bb.16:                               ;   in Loop: Header=BB2_3 Depth=1
	s_and_not1_saveexec_b32 s1, s1
	s_cbranch_execnz .LBB2_25
.LBB2_17:                               ;   in Loop: Header=BB2_3 Depth=1
	s_or_b32 exec_lo, exec_lo, s1
	s_and_saveexec_b32 s5, s0
	s_cbranch_execz .LBB2_2
	s_branch .LBB2_28
.LBB2_18:                               ;   in Loop: Header=BB2_3 Depth=1
	s_mov_b32 s5, -1
	s_mov_b32 s0, exec_lo
	v_cmpx_eq_u16_e32 21, v0
	s_cbranch_execz .LBB2_24
; %bb.19:                               ;   in Loop: Header=BB2_3 Depth=1
	s_mov_b32 s6, exec_lo
	s_mov_b32 s5, exec_lo
	v_mbcnt_lo_u32_b32 v0, s6, 0
                                        ; implicit-def: $vgpr10_vgpr11
	s_delay_alu instid0(VALU_DEP_1)
	v_cmpx_eq_u32_e32 0, v0
	s_cbranch_execz .LBB2_21
; %bb.20:                               ;   in Loop: Header=BB2_3 Depth=1
	s_bcnt1_i32_b32 s6, s6
	s_delay_alu instid0(SALU_CYCLE_1)
	v_dual_mov_b32 v11, v1 :: v_dual_mov_b32 v10, s6
	s_wait_kmcnt 0x0
	global_atomic_add_u64 v[10:11], v1, v[10:11], s[2:3] th:TH_ATOMIC_RETURN scope:SCOPE_DEV
.LBB2_21:                               ;   in Loop: Header=BB2_3 Depth=1
	s_wait_xcnt 0x0
	s_or_b32 exec_lo, exec_lo, s5
	s_wait_loadcnt 0x0
	v_readfirstlane_b32 s7, v11
	v_readfirstlane_b32 s6, v10
	s_mov_b32 s5, exec_lo
	v_add_nc_u64_e32 v[10:11], s[6:7], v[0:1]
	s_delay_alu instid0(VALU_DEP_1)
	v_cmpx_gt_i64_e32 0x5f5e100, v[10:11]
	s_cbranch_execz .LBB2_23
; %bb.22:                               ;   in Loop: Header=BB2_3 Depth=1
	ds_load_b128 v[22:25], v15
	s_wait_kmcnt 0x0
	v_lshl_add_u64 v[10:11], v[10:11], 4, s[2:3]
	s_wait_dscnt 0x0
	global_store_b128 v[10:11], v[22:25], off offset:8
.LBB2_23:                               ;   in Loop: Header=BB2_3 Depth=1
	s_wait_xcnt 0x0
	s_or_b32 exec_lo, exec_lo, s5
	s_delay_alu instid0(SALU_CYCLE_1)
	s_xor_b32 s5, exec_lo, -1
.LBB2_24:                               ;   in Loop: Header=BB2_3 Depth=1
	s_or_b32 exec_lo, exec_lo, s0
	s_delay_alu instid0(SALU_CYCLE_1)
	s_and_b32 s0, s5, exec_lo
                                        ; implicit-def: $vgpr0
	s_and_not1_saveexec_b32 s1, s1
	s_cbranch_execz .LBB2_17
.LBB2_25:                               ;   in Loop: Header=BB2_3 Depth=1
	s_mov_b32 s6, -1
	s_mov_b32 s5, exec_lo
	v_cmpx_eq_u16_e32 5, v0
	s_cbranch_execz .LBB2_27
; %bb.26:                               ;   in Loop: Header=BB2_3 Depth=1
	v_sub_nc_u64_e32 v[10:11], v[4:5], v[2:3]
	v_ashrrev_i32_e32 v9, 31, v8
	s_delay_alu instid0(VALU_DEP_1) | instskip(NEXT) | instid1(VALU_DEP_1)
	v_mad_nc_u64_u32 v[22:23], 0x1ffff, v10, v[8:9]
	v_mov_b32_e32 v0, v22
	s_delay_alu instid0(VALU_DEP_2) | instskip(NEXT) | instid1(VALU_DEP_2)
	v_mad_u32 v23, 0x1ffff, v11, v23
	v_mul_u64_e32 v[24:25], 0x400101, v[0:1]
	s_delay_alu instid0(VALU_DEP_1) | instskip(NEXT) | instid1(VALU_DEP_1)
	v_mov_b32_e32 v0, v25
	v_mad_nc_u64_u32 v[10:11], 0x400101, v23, v[0:1]
	s_delay_alu instid0(VALU_DEP_1) | instskip(NEXT) | instid1(VALU_DEP_1)
	v_dual_mov_b32 v0, v11 :: v_dual_mov_b32 v11, v1
	v_mad_nc_u64_u32 v[10:11], 0x40010, v22, v[10:11]
	s_delay_alu instid0(VALU_DEP_1) | instskip(NEXT) | instid1(VALU_DEP_1)
	v_dual_mov_b32 v10, v11 :: v_dual_mov_b32 v11, v1
	v_add_nc_u64_e32 v[10:11], v[0:1], v[10:11]
	s_delay_alu instid0(VALU_DEP_1) | instskip(NEXT) | instid1(VALU_DEP_1)
	v_mad_nc_u64_u32 v[10:11], 0x40010, v23, v[10:11]
	v_sub_nc_u64_e32 v[24:25], v[22:23], v[10:11]
	s_delay_alu instid0(VALU_DEP_1) | instskip(NEXT) | instid1(VALU_DEP_1)
	v_lshrrev_b64 v[24:25], 1, v[24:25]
	v_add_nc_u64_e32 v[10:11], v[24:25], v[10:11]
	s_delay_alu instid0(VALU_DEP_1) | instskip(NEXT) | instid1(VALU_DEP_1)
	v_lshrrev_b64 v[10:11], 13, v[10:11]
	v_mul_u64_e32 v[10:11], 0x3fff, v[10:11]
	s_delay_alu instid0(VALU_DEP_1) | instskip(NEXT) | instid1(VALU_DEP_1)
	v_sub_nc_u64_e32 v[10:11], v[22:23], v[10:11]
	v_cmp_eq_u64_e32 vcc_lo, v[10:11], v[6:7]
	s_or_not1_b32 s6, vcc_lo, exec_lo
.LBB2_27:                               ;   in Loop: Header=BB2_3 Depth=1
	s_or_b32 exec_lo, exec_lo, s5
	s_delay_alu instid0(SALU_CYCLE_1) | instskip(SKIP_1) | instid1(SALU_CYCLE_1)
	s_and_not1_b32 s0, s0, exec_lo
	s_and_b32 s5, s6, exec_lo
	s_or_b32 s0, s0, s5
	s_or_b32 exec_lo, exec_lo, s1
	s_and_saveexec_b32 s5, s0
	s_cbranch_execz .LBB2_2
.LBB2_28:                               ;   in Loop: Header=BB2_3 Depth=1
	v_add_nc_u16 v0, v21, 1
	v_sub_nc_u16 v9, v21, 22
	s_mov_b32 s6, exec_lo
	s_delay_alu instid0(VALU_DEP_2) | instskip(NEXT) | instid1(VALU_DEP_1)
	v_bfe_i32 v0, v0, 0, 8
	v_cmp_gt_i16_e32 vcc_lo, 12, v0
	v_cmpx_ne_u64_e32 0, v[2:3]
	s_cbranch_execz .LBB2_34
; %bb.29:                               ;   in Loop: Header=BB2_3 Depth=1
	v_ctz_i32_b32_e32 v2, v2
	v_ctz_i32_b32_e32 v3, v3
	s_mov_b32 s7, exec_lo
	s_delay_alu instid0(VALU_DEP_1) | instskip(NEXT) | instid1(VALU_DEP_1)
	v_add_min_u32_e64 v2, v3, 32, v2
	v_add_nc_u16 v2, v9, v2
	s_delay_alu instid0(VALU_DEP_1) | instskip(NEXT) | instid1(VALU_DEP_1)
	v_and_b32_e32 v3, 0xff, v2
	v_cmpx_gt_u16_e32 11, v3
	s_cbranch_execz .LBB2_33
; %bb.30:                               ;   in Loop: Header=BB2_3 Depth=1
	v_lshrrev_b32_e32 v10, v2, v8
	v_cmp_ne_u16_e64 s0, 0, v3
	s_delay_alu instid0(VALU_DEP_2) | instskip(SKIP_1) | instid1(VALU_DEP_1)
	v_and_b32_e32 v10, 1, v10
	s_or_b32 s0, vcc_lo, s0
	v_cmp_eq_u32_e64 s1, 1, v10
	s_and_b32 s1, s0, s1
	s_delay_alu instid0(SALU_CYCLE_1)
	s_and_saveexec_b32 s0, s1
	s_cbranch_execz .LBB2_32
; %bb.31:                               ;   in Loop: Header=BB2_3 Depth=1
	v_mov_b32_e32 v17, v19
	ds_store_b8 v20, v0
	ds_store_b8 v20, v2 offset:1
	ds_store_b8 v20, v1 offset:2
	ds_store_b8 v20, v18 offset:3
.LBB2_32:                               ;   in Loop: Header=BB2_3 Depth=1
	s_or_b32 exec_lo, exec_lo, s0
.LBB2_33:                               ;   in Loop: Header=BB2_3 Depth=1
	s_delay_alu instid0(SALU_CYCLE_1)
	s_or_b32 exec_lo, exec_lo, s7
.LBB2_34:                               ;   in Loop: Header=BB2_3 Depth=1
	s_delay_alu instid0(SALU_CYCLE_1) | instskip(NEXT) | instid1(SALU_CYCLE_1)
	s_or_b32 exec_lo, exec_lo, s6
	s_mov_b32 s6, exec_lo
	v_cmpx_ne_u64_e32 0, v[4:5]
	s_cbranch_execz .LBB2_40
; %bb.35:                               ;   in Loop: Header=BB2_3 Depth=1
	v_ctz_i32_b32_e32 v2, v4
	v_ctz_i32_b32_e32 v3, v5
	s_mov_b32 s7, exec_lo
	s_delay_alu instid0(VALU_DEP_1) | instskip(NEXT) | instid1(VALU_DEP_1)
	v_add_min_u32_e64 v2, v3, 32, v2
	v_add_nc_u16 v2, v9, v2
	s_delay_alu instid0(VALU_DEP_1) | instskip(NEXT) | instid1(VALU_DEP_1)
	v_and_b32_e32 v3, 0xff, v2
	v_cmpx_gt_u16_e32 11, v3
	s_cbranch_execz .LBB2_39
; %bb.36:                               ;   in Loop: Header=BB2_3 Depth=1
	v_lshrrev_b32_e32 v4, v2, v8
	v_cmp_ne_u16_e64 s0, 0, v3
	s_delay_alu instid0(VALU_DEP_2) | instskip(SKIP_1) | instid1(VALU_DEP_1)
	v_and_b32_e32 v4, 1, v4
	s_or_b32 s0, vcc_lo, s0
	v_cmp_eq_u32_e64 s1, 1, v4
	s_and_b32 s1, s0, s1
	s_delay_alu instid0(SALU_CYCLE_1)
	s_and_saveexec_b32 s0, s1
	s_cbranch_execz .LBB2_38
; %bb.37:                               ;   in Loop: Header=BB2_3 Depth=1
	v_dual_add_nc_u32 v3, v14, v17 :: v_dual_add_nc_u32 v17, 4, v17
	ds_store_b8 v3, v0
	ds_store_b8 v3, v2 offset:1
	ds_store_b8 v3, v16 offset:2
	;; [unrolled: 1-line block ×3, first 2 shown]
.LBB2_38:                               ;   in Loop: Header=BB2_3 Depth=1
	s_or_b32 exec_lo, exec_lo, s0
.LBB2_39:                               ;   in Loop: Header=BB2_3 Depth=1
	s_delay_alu instid0(SALU_CYCLE_1)
	s_or_b32 exec_lo, exec_lo, s7
.LBB2_40:                               ;   in Loop: Header=BB2_3 Depth=1
	s_delay_alu instid0(SALU_CYCLE_1) | instskip(SKIP_2) | instid1(VALU_DEP_1)
	s_or_b32 exec_lo, exec_lo, s6
	v_bfe_i32 v2, v18, 0, 8
	s_mov_b32 s0, exec_lo
	v_cmpx_gt_i16_e32 11, v2
	s_cbranch_execz .LBB2_1
; %bb.41:                               ;   in Loop: Header=BB2_3 Depth=1
	v_lshlrev_b16 v2, 8, v18
	v_or_b32_e32 v0, 0xffffff00, v0
	v_dual_add_nc_u32 v4, v14, v17 :: v_dual_add_nc_u32 v17, 8, v17
	s_delay_alu instid0(VALU_DEP_3) | instskip(NEXT) | instid1(VALU_DEP_3)
	v_or_b32_e32 v2, 1, v2
	v_and_b32_e32 v0, 0xffff, v0
	s_delay_alu instid0(VALU_DEP_2) | instskip(NEXT) | instid1(VALU_DEP_2)
	v_lshlrev_b32_e32 v2, 16, v2
	v_lshl_or_b32 v3, v18, 24, v0
	s_delay_alu instid0(VALU_DEP_2)
	v_or_b32_e32 v2, v0, v2
	ds_store_b64 v4, v[2:3]
	s_branch .LBB2_1
.LBB2_42:
	s_endpgm
	.section	.rodata,"a",@progbits
	.p2align	6, 0x0
	.amdhsa_kernel _Z7dfs_gpuILi11EEvPl
		.amdhsa_group_segment_fixed_size 2960
		.amdhsa_private_segment_fixed_size 0
		.amdhsa_kernarg_size 8
		.amdhsa_user_sgpr_count 2
		.amdhsa_user_sgpr_dispatch_ptr 0
		.amdhsa_user_sgpr_queue_ptr 0
		.amdhsa_user_sgpr_kernarg_segment_ptr 1
		.amdhsa_user_sgpr_dispatch_id 0
		.amdhsa_user_sgpr_kernarg_preload_length 0
		.amdhsa_user_sgpr_kernarg_preload_offset 0
		.amdhsa_user_sgpr_private_segment_size 0
		.amdhsa_wavefront_size32 1
		.amdhsa_uses_dynamic_stack 0
		.amdhsa_enable_private_segment 0
		.amdhsa_system_sgpr_workgroup_id_x 1
		.amdhsa_system_sgpr_workgroup_id_y 0
		.amdhsa_system_sgpr_workgroup_id_z 0
		.amdhsa_system_sgpr_workgroup_info 0
		.amdhsa_system_vgpr_workitem_id 0
		.amdhsa_next_free_vgpr 26
		.amdhsa_next_free_sgpr 8
		.amdhsa_named_barrier_count 0
		.amdhsa_reserve_vcc 1
		.amdhsa_float_round_mode_32 0
		.amdhsa_float_round_mode_16_64 0
		.amdhsa_float_denorm_mode_32 3
		.amdhsa_float_denorm_mode_16_64 3
		.amdhsa_fp16_overflow 0
		.amdhsa_memory_ordered 1
		.amdhsa_forward_progress 1
		.amdhsa_inst_pref_size 14
		.amdhsa_round_robin_scheduling 0
		.amdhsa_exception_fp_ieee_invalid_op 0
		.amdhsa_exception_fp_denorm_src 0
		.amdhsa_exception_fp_ieee_div_zero 0
		.amdhsa_exception_fp_ieee_overflow 0
		.amdhsa_exception_fp_ieee_underflow 0
		.amdhsa_exception_fp_ieee_inexact 0
		.amdhsa_exception_int_div_zero 0
	.end_amdhsa_kernel
	.section	.text._Z7dfs_gpuILi11EEvPl,"axG",@progbits,_Z7dfs_gpuILi11EEvPl,comdat
.Lfunc_end2:
	.size	_Z7dfs_gpuILi11EEvPl, .Lfunc_end2-_Z7dfs_gpuILi11EEvPl
                                        ; -- End function
	.set _Z7dfs_gpuILi11EEvPl.num_vgpr, 26
	.set _Z7dfs_gpuILi11EEvPl.num_agpr, 0
	.set _Z7dfs_gpuILi11EEvPl.numbered_sgpr, 8
	.set _Z7dfs_gpuILi11EEvPl.num_named_barrier, 0
	.set _Z7dfs_gpuILi11EEvPl.private_seg_size, 0
	.set _Z7dfs_gpuILi11EEvPl.uses_vcc, 1
	.set _Z7dfs_gpuILi11EEvPl.uses_flat_scratch, 0
	.set _Z7dfs_gpuILi11EEvPl.has_dyn_sized_stack, 0
	.set _Z7dfs_gpuILi11EEvPl.has_recursion, 0
	.set _Z7dfs_gpuILi11EEvPl.has_indirect_call, 0
	.section	.AMDGPU.csdata,"",@progbits
; Kernel info:
; codeLenInByte = 1672
; TotalNumSgprs: 10
; NumVgprs: 26
; ScratchSize: 0
; MemoryBound: 0
; FloatMode: 240
; IeeeMode: 1
; LDSByteSize: 2960 bytes/workgroup (compile time only)
; SGPRBlocks: 0
; VGPRBlocks: 1
; NumSGPRsForWavesPerEU: 10
; NumVGPRsForWavesPerEU: 26
; NamedBarCnt: 0
; Occupancy: 16
; WaveLimiterHint : 0
; COMPUTE_PGM_RSRC2:SCRATCH_EN: 0
; COMPUTE_PGM_RSRC2:USER_SGPR: 2
; COMPUTE_PGM_RSRC2:TRAP_HANDLER: 0
; COMPUTE_PGM_RSRC2:TGID_X_EN: 1
; COMPUTE_PGM_RSRC2:TGID_Y_EN: 0
; COMPUTE_PGM_RSRC2:TGID_Z_EN: 0
; COMPUTE_PGM_RSRC2:TIDIG_COMP_CNT: 0
	.section	.text._Z7dfs_gpuILi12EEvPl,"axG",@progbits,_Z7dfs_gpuILi12EEvPl,comdat
	.protected	_Z7dfs_gpuILi12EEvPl    ; -- Begin function _Z7dfs_gpuILi12EEvPl
	.globl	_Z7dfs_gpuILi12EEvPl
	.p2align	8
	.type	_Z7dfs_gpuILi12EEvPl,@function
_Z7dfs_gpuILi12EEvPl:                   ; @_Z7dfs_gpuILi12EEvPl
; %bb.0:
	s_bfe_u32 s2, ttmp6, 0x4000c
	s_and_b32 s3, ttmp6, 15
	s_add_co_i32 s2, s2, 1
	s_getreg_b32 s4, hwreg(HW_REG_IB_STS2, 6, 4)
	s_mul_i32 s2, ttmp9, s2
	v_dual_mov_b32 v1, 0 :: v_dual_mov_b32 v19, 4
	s_add_co_i32 s5, s3, s2
	s_load_b64 s[2:3], s[0:1], 0x0
	s_cmp_eq_u32 s4, 0
	s_wait_xcnt 0x0
	s_movk_i32 s1, 0x64
	s_cselect_b32 s0, ttmp9, s5
	v_mad_u32_u24 v12, v0, s1, 0xac0
	v_lshl_add_u32 v6, s0, 2, v0
	s_movk_i32 s0, 0x120
	v_mul_u32_u24_e32 v4, 0x64, v0
	v_mul_u32_u24_e32 v13, 0x190, v0
	v_mad_u32_u24 v14, v0, s0, 0x640
	v_lshl_add_u32 v15, v0, 4, 0xc50
	v_dual_mov_b32 v8, 0xfff :: v_dual_mov_b32 v3, v1
	v_dual_mov_b32 v9, 0xff00 :: v_dual_mov_b32 v16, 1
	v_ashrrev_i32_e32 v7, 31, v6
	v_mul_u32_u24_e32 v5, 0x120, v0
	v_dual_mov_b32 v0, v1 :: v_dual_mov_b32 v2, v1
	s_mov_b32 s4, 0
	ds_store_b32 v4, v8 offset:2752
	ds_store_b128 v13, v[0:3]
	ds_store_b32 v5, v9 offset:1600
	s_branch .LBB3_3
.LBB3_1:                                ;   in Loop: Header=BB3_3 Depth=1
	s_or_b32 exec_lo, exec_lo, s0
.LBB3_2:                                ;   in Loop: Header=BB3_3 Depth=1
	s_delay_alu instid0(SALU_CYCLE_1) | instskip(SKIP_3) | instid1(SALU_CYCLE_1)
	s_or_b32 exec_lo, exec_lo, s5
	v_cmp_eq_u32_e32 vcc_lo, 0, v17
	v_mov_b32_e32 v19, v17
	s_or_b32 s4, vcc_lo, s4
	s_and_not1_b32 exec_lo, exec_lo, s4
	s_cbranch_execz .LBB3_42
.LBB3_3:                                ; =>This Inner Loop Header: Depth=1
	s_delay_alu instid0(VALU_DEP_1) | instskip(NEXT) | instid1(VALU_DEP_1)
	v_dual_add_nc_u32 v17, -4, v19 :: v_dual_add_nc_u32 v0, v14, v19
	v_dual_add_nc_u32 v20, v14, v17 :: v_dual_add_nc_u32 v2, -2, v0
	v_add_nc_u32_e32 v8, -1, v0
	ds_load_u8 v21, v20
	s_wait_dscnt 0x0
	v_bfe_i32 v11, v21, 0, 8
	s_delay_alu instid0(VALU_DEP_1)
	v_dual_add_nc_u32 v3, -3, v0 :: v_dual_lshlrev_b32 v4, 4, v11
	ds_load_u8 v22, v2
	ds_load_i8 v10, v3
	v_lshl_add_u32 v0, v11, 2, v12
	v_add_nc_u32_e32 v9, v13, v4
	ds_load_b128 v[2:5], v9
	ds_load_u8 v18, v8
	ds_load_b32 v8, v0
	s_wait_dscnt 0x4
	v_cmp_ne_u16_e64 s0, 0, v22
	s_wait_dscnt 0x3
	v_cmp_gt_i16_e32 vcc_lo, 0, v10
	s_wait_dscnt 0x2
	ds_store_b128 v9, v[2:5] offset:16
	s_and_saveexec_b32 s1, s0
	s_delay_alu instid0(SALU_CYCLE_1)
	s_xor_b32 s0, exec_lo, s1
	s_cbranch_execz .LBB3_9
; %bb.4:                                ;   in Loop: Header=BB3_3 Depth=1
	s_and_saveexec_b32 s1, vcc_lo
	s_delay_alu instid0(SALU_CYCLE_1)
	s_xor_b32 s1, exec_lo, s1
	s_cbranch_execz .LBB3_6
; %bb.5:                                ;   in Loop: Header=BB3_3 Depth=1
	v_lshrrev_b64 v[10:11], v11, 0x800000
	s_wait_dscnt 0x2
	v_add_nc_u16 v18, v18, 1
	s_delay_alu instid0(VALU_DEP_2) | instskip(NEXT) | instid1(VALU_DEP_3)
	v_or_b32_e32 v5, v5, v11
	v_or_b32_e32 v4, v4, v10
                                        ; implicit-def: $vgpr10
	ds_store_b64 v9, v[4:5] offset:24
                                        ; implicit-def: $vgpr9
.LBB3_6:                                ;   in Loop: Header=BB3_3 Depth=1
	s_and_not1_saveexec_b32 s1, s1
	s_cbranch_execz .LBB3_8
; %bb.7:                                ;   in Loop: Header=BB3_3 Depth=1
	v_bfe_i32 v22, v10, 0, 16
	v_add_nc_u64_e32 v[10:11], -1, v[4:5]
	s_delay_alu instid0(VALU_DEP_2) | instskip(NEXT) | instid1(VALU_DEP_2)
	v_lshlrev_b32_e64 v23, v22, 1
	v_dual_add_nc_u32 v22, v15, v22 :: v_dual_bitop2_b32 v4, v10, v4 bitop3:0x40
	s_delay_alu instid0(VALU_DEP_3) | instskip(SKIP_1) | instid1(VALU_DEP_3)
	v_and_b32_e32 v5, v11, v5
	s_wait_dscnt 0x1
	v_xor_b32_e32 v8, v8, v23
	ds_store_b8 v22, v21
	ds_store_b64 v9, v[4:5] offset:24
.LBB3_8:                                ;   in Loop: Header=BB3_3 Depth=1
	s_or_b32 exec_lo, exec_lo, s1
                                        ; implicit-def: $vgpr10
                                        ; implicit-def: $vgpr9
                                        ; implicit-def: $vgpr11
.LBB3_9:                                ;   in Loop: Header=BB3_3 Depth=1
	s_and_not1_saveexec_b32 s0, s0
	s_cbranch_execz .LBB3_15
; %bb.10:                               ;   in Loop: Header=BB3_3 Depth=1
	s_and_saveexec_b32 s1, vcc_lo
	s_delay_alu instid0(SALU_CYCLE_1)
	s_xor_b32 s1, exec_lo, s1
	s_cbranch_execz .LBB3_12
; %bb.11:                               ;   in Loop: Header=BB3_3 Depth=1
	v_lshrrev_b64 v[10:11], v11, 0x800000
	s_wait_dscnt 0x2
	v_add_nc_u16 v18, v18, 1
	s_delay_alu instid0(VALU_DEP_2) | instskip(NEXT) | instid1(VALU_DEP_3)
	v_or_b32_e32 v3, v11, v3
	v_or_b32_e32 v2, v10, v2
                                        ; implicit-def: $vgpr10
	ds_store_b64 v9, v[2:3] offset:16
                                        ; implicit-def: $vgpr9
.LBB3_12:                               ;   in Loop: Header=BB3_3 Depth=1
	s_and_not1_saveexec_b32 s1, s1
	s_cbranch_execz .LBB3_14
; %bb.13:                               ;   in Loop: Header=BB3_3 Depth=1
	v_bfe_i32 v22, v10, 0, 16
	v_add_nc_u64_e32 v[10:11], -1, v[2:3]
	s_delay_alu instid0(VALU_DEP_2) | instskip(SKIP_1) | instid1(VALU_DEP_3)
	v_lshlrev_b32_e64 v23, v22, 1
	v_add_nc_u32_e32 v22, v15, v22
	v_and_b32_e32 v3, v11, v3
	s_delay_alu instid0(VALU_DEP_4)
	v_and_b32_e32 v2, v10, v2
	s_wait_dscnt 0x1
	v_xor_b32_e32 v8, v8, v23
	ds_store_b8 v22, v21
	ds_store_b64 v9, v[2:3] offset:16
.LBB3_14:                               ;   in Loop: Header=BB3_3 Depth=1
	s_or_b32 exec_lo, exec_lo, s1
.LBB3_15:                               ;   in Loop: Header=BB3_3 Depth=1
	s_delay_alu instid0(SALU_CYCLE_1)
	s_or_b32 exec_lo, exec_lo, s0
	s_wait_dscnt 0x1
	ds_store_b32 v0, v8 offset:4
	v_and_b32_e32 v0, 0xff, v21
	s_mov_b32 s0, 0
	s_mov_b32 s1, exec_lo
	s_delay_alu instid0(VALU_DEP_1)
	v_cmpx_lt_i16_e32 22, v0
	s_xor_b32 s1, exec_lo, s1
	s_cbranch_execnz .LBB3_18
; %bb.16:                               ;   in Loop: Header=BB3_3 Depth=1
	s_and_not1_saveexec_b32 s1, s1
	s_cbranch_execnz .LBB3_25
.LBB3_17:                               ;   in Loop: Header=BB3_3 Depth=1
	s_or_b32 exec_lo, exec_lo, s1
	s_and_saveexec_b32 s5, s0
	s_cbranch_execz .LBB3_2
	s_branch .LBB3_28
.LBB3_18:                               ;   in Loop: Header=BB3_3 Depth=1
	s_mov_b32 s5, -1
	s_mov_b32 s0, exec_lo
	v_cmpx_eq_u16_e32 23, v0
	s_cbranch_execz .LBB3_24
; %bb.19:                               ;   in Loop: Header=BB3_3 Depth=1
	s_mov_b32 s6, exec_lo
	s_mov_b32 s5, exec_lo
	v_mbcnt_lo_u32_b32 v0, s6, 0
                                        ; implicit-def: $vgpr10_vgpr11
	s_delay_alu instid0(VALU_DEP_1)
	v_cmpx_eq_u32_e32 0, v0
	s_cbranch_execz .LBB3_21
; %bb.20:                               ;   in Loop: Header=BB3_3 Depth=1
	s_bcnt1_i32_b32 s6, s6
	s_delay_alu instid0(SALU_CYCLE_1)
	v_dual_mov_b32 v11, v1 :: v_dual_mov_b32 v10, s6
	s_wait_kmcnt 0x0
	global_atomic_add_u64 v[10:11], v1, v[10:11], s[2:3] th:TH_ATOMIC_RETURN scope:SCOPE_DEV
.LBB3_21:                               ;   in Loop: Header=BB3_3 Depth=1
	s_wait_xcnt 0x0
	s_or_b32 exec_lo, exec_lo, s5
	s_wait_loadcnt 0x0
	v_readfirstlane_b32 s7, v11
	v_readfirstlane_b32 s6, v10
	s_mov_b32 s5, exec_lo
	v_add_nc_u64_e32 v[10:11], s[6:7], v[0:1]
	s_delay_alu instid0(VALU_DEP_1)
	v_cmpx_gt_i64_e32 0x5f5e100, v[10:11]
	s_cbranch_execz .LBB3_23
; %bb.22:                               ;   in Loop: Header=BB3_3 Depth=1
	ds_load_b128 v[22:25], v15
	s_wait_kmcnt 0x0
	v_lshl_add_u64 v[10:11], v[10:11], 4, s[2:3]
	s_wait_dscnt 0x0
	global_store_b128 v[10:11], v[22:25], off offset:8
.LBB3_23:                               ;   in Loop: Header=BB3_3 Depth=1
	s_wait_xcnt 0x0
	s_or_b32 exec_lo, exec_lo, s5
	s_delay_alu instid0(SALU_CYCLE_1)
	s_xor_b32 s5, exec_lo, -1
.LBB3_24:                               ;   in Loop: Header=BB3_3 Depth=1
	s_or_b32 exec_lo, exec_lo, s0
	s_delay_alu instid0(SALU_CYCLE_1)
	s_and_b32 s0, s5, exec_lo
                                        ; implicit-def: $vgpr0
	s_and_not1_saveexec_b32 s1, s1
	s_cbranch_execz .LBB3_17
.LBB3_25:                               ;   in Loop: Header=BB3_3 Depth=1
	s_mov_b32 s6, -1
	s_mov_b32 s5, exec_lo
	v_cmpx_eq_u16_e32 6, v0
	s_cbranch_execz .LBB3_27
; %bb.26:                               ;   in Loop: Header=BB3_3 Depth=1
	v_sub_nc_u64_e32 v[10:11], v[4:5], v[2:3]
	v_ashrrev_i32_e32 v9, 31, v8
	s_delay_alu instid0(VALU_DEP_1) | instskip(NEXT) | instid1(VALU_DEP_1)
	v_mad_nc_u64_u32 v[22:23], 0x1ffff, v10, v[8:9]
	v_mov_b32_e32 v0, v22
	s_delay_alu instid0(VALU_DEP_2) | instskip(NEXT) | instid1(VALU_DEP_2)
	v_mad_u32 v23, 0x1ffff, v11, v23
	v_mul_u64_e32 v[24:25], 0x400101, v[0:1]
	s_delay_alu instid0(VALU_DEP_1) | instskip(NEXT) | instid1(VALU_DEP_1)
	v_mov_b32_e32 v0, v25
	v_mad_nc_u64_u32 v[10:11], 0x400101, v23, v[0:1]
	s_delay_alu instid0(VALU_DEP_1) | instskip(NEXT) | instid1(VALU_DEP_1)
	v_dual_mov_b32 v0, v11 :: v_dual_mov_b32 v11, v1
	v_mad_nc_u64_u32 v[10:11], 0x40010, v22, v[10:11]
	s_delay_alu instid0(VALU_DEP_1) | instskip(NEXT) | instid1(VALU_DEP_1)
	v_dual_mov_b32 v10, v11 :: v_dual_mov_b32 v11, v1
	v_add_nc_u64_e32 v[10:11], v[0:1], v[10:11]
	s_delay_alu instid0(VALU_DEP_1) | instskip(NEXT) | instid1(VALU_DEP_1)
	v_mad_nc_u64_u32 v[10:11], 0x40010, v23, v[10:11]
	v_sub_nc_u64_e32 v[24:25], v[22:23], v[10:11]
	s_delay_alu instid0(VALU_DEP_1) | instskip(NEXT) | instid1(VALU_DEP_1)
	v_lshrrev_b64 v[24:25], 1, v[24:25]
	v_add_nc_u64_e32 v[10:11], v[24:25], v[10:11]
	s_delay_alu instid0(VALU_DEP_1) | instskip(NEXT) | instid1(VALU_DEP_1)
	v_lshrrev_b64 v[10:11], 13, v[10:11]
	v_mul_u64_e32 v[10:11], 0x3fff, v[10:11]
	s_delay_alu instid0(VALU_DEP_1) | instskip(NEXT) | instid1(VALU_DEP_1)
	v_sub_nc_u64_e32 v[10:11], v[22:23], v[10:11]
	v_cmp_eq_u64_e32 vcc_lo, v[10:11], v[6:7]
	s_or_not1_b32 s6, vcc_lo, exec_lo
.LBB3_27:                               ;   in Loop: Header=BB3_3 Depth=1
	s_or_b32 exec_lo, exec_lo, s5
	s_delay_alu instid0(SALU_CYCLE_1) | instskip(SKIP_1) | instid1(SALU_CYCLE_1)
	s_and_not1_b32 s0, s0, exec_lo
	s_and_b32 s5, s6, exec_lo
	s_or_b32 s0, s0, s5
	s_or_b32 exec_lo, exec_lo, s1
	s_and_saveexec_b32 s5, s0
	s_cbranch_execz .LBB3_2
.LBB3_28:                               ;   in Loop: Header=BB3_3 Depth=1
	v_add_nc_u16 v0, v21, 1
	v_sub_nc_u16 v9, v21, 24
	s_mov_b32 s6, exec_lo
	s_delay_alu instid0(VALU_DEP_2) | instskip(NEXT) | instid1(VALU_DEP_1)
	v_bfe_i32 v0, v0, 0, 8
	v_cmp_gt_i16_e32 vcc_lo, 13, v0
	v_cmpx_ne_u64_e32 0, v[2:3]
	s_cbranch_execz .LBB3_34
; %bb.29:                               ;   in Loop: Header=BB3_3 Depth=1
	v_ctz_i32_b32_e32 v2, v2
	v_ctz_i32_b32_e32 v3, v3
	s_mov_b32 s7, exec_lo
	s_delay_alu instid0(VALU_DEP_1) | instskip(NEXT) | instid1(VALU_DEP_1)
	v_add_min_u32_e64 v2, v3, 32, v2
	v_add_nc_u16 v2, v9, v2
	s_delay_alu instid0(VALU_DEP_1) | instskip(NEXT) | instid1(VALU_DEP_1)
	v_and_b32_e32 v3, 0xff, v2
	v_cmpx_gt_u16_e32 12, v3
	s_cbranch_execz .LBB3_33
; %bb.30:                               ;   in Loop: Header=BB3_3 Depth=1
	v_lshrrev_b32_e32 v10, v2, v8
	v_cmp_ne_u16_e64 s0, 0, v3
	s_delay_alu instid0(VALU_DEP_2) | instskip(SKIP_1) | instid1(VALU_DEP_1)
	v_and_b32_e32 v10, 1, v10
	s_or_b32 s0, vcc_lo, s0
	v_cmp_eq_u32_e64 s1, 1, v10
	s_and_b32 s1, s0, s1
	s_delay_alu instid0(SALU_CYCLE_1)
	s_and_saveexec_b32 s0, s1
	s_cbranch_execz .LBB3_32
; %bb.31:                               ;   in Loop: Header=BB3_3 Depth=1
	v_mov_b32_e32 v17, v19
	ds_store_b8 v20, v0
	ds_store_b8 v20, v2 offset:1
	ds_store_b8 v20, v1 offset:2
	;; [unrolled: 1-line block ×3, first 2 shown]
.LBB3_32:                               ;   in Loop: Header=BB3_3 Depth=1
	s_or_b32 exec_lo, exec_lo, s0
.LBB3_33:                               ;   in Loop: Header=BB3_3 Depth=1
	s_delay_alu instid0(SALU_CYCLE_1)
	s_or_b32 exec_lo, exec_lo, s7
.LBB3_34:                               ;   in Loop: Header=BB3_3 Depth=1
	s_delay_alu instid0(SALU_CYCLE_1) | instskip(NEXT) | instid1(SALU_CYCLE_1)
	s_or_b32 exec_lo, exec_lo, s6
	s_mov_b32 s6, exec_lo
	v_cmpx_ne_u64_e32 0, v[4:5]
	s_cbranch_execz .LBB3_40
; %bb.35:                               ;   in Loop: Header=BB3_3 Depth=1
	v_ctz_i32_b32_e32 v2, v4
	v_ctz_i32_b32_e32 v3, v5
	s_mov_b32 s7, exec_lo
	s_delay_alu instid0(VALU_DEP_1) | instskip(NEXT) | instid1(VALU_DEP_1)
	v_add_min_u32_e64 v2, v3, 32, v2
	v_add_nc_u16 v2, v9, v2
	s_delay_alu instid0(VALU_DEP_1) | instskip(NEXT) | instid1(VALU_DEP_1)
	v_and_b32_e32 v3, 0xff, v2
	v_cmpx_gt_u16_e32 12, v3
	s_cbranch_execz .LBB3_39
; %bb.36:                               ;   in Loop: Header=BB3_3 Depth=1
	v_lshrrev_b32_e32 v4, v2, v8
	v_cmp_ne_u16_e64 s0, 0, v3
	s_delay_alu instid0(VALU_DEP_2) | instskip(SKIP_1) | instid1(VALU_DEP_1)
	v_and_b32_e32 v4, 1, v4
	s_or_b32 s0, vcc_lo, s0
	v_cmp_eq_u32_e64 s1, 1, v4
	s_and_b32 s1, s0, s1
	s_delay_alu instid0(SALU_CYCLE_1)
	s_and_saveexec_b32 s0, s1
	s_cbranch_execz .LBB3_38
; %bb.37:                               ;   in Loop: Header=BB3_3 Depth=1
	v_dual_add_nc_u32 v3, v14, v17 :: v_dual_add_nc_u32 v17, 4, v17
	ds_store_b8 v3, v0
	ds_store_b8 v3, v2 offset:1
	ds_store_b8 v3, v16 offset:2
	;; [unrolled: 1-line block ×3, first 2 shown]
.LBB3_38:                               ;   in Loop: Header=BB3_3 Depth=1
	s_or_b32 exec_lo, exec_lo, s0
.LBB3_39:                               ;   in Loop: Header=BB3_3 Depth=1
	s_delay_alu instid0(SALU_CYCLE_1)
	s_or_b32 exec_lo, exec_lo, s7
.LBB3_40:                               ;   in Loop: Header=BB3_3 Depth=1
	s_delay_alu instid0(SALU_CYCLE_1) | instskip(SKIP_2) | instid1(VALU_DEP_1)
	s_or_b32 exec_lo, exec_lo, s6
	v_bfe_i32 v2, v18, 0, 8
	s_mov_b32 s0, exec_lo
	v_cmpx_gt_i16_e32 12, v2
	s_cbranch_execz .LBB3_1
; %bb.41:                               ;   in Loop: Header=BB3_3 Depth=1
	v_lshlrev_b16 v2, 8, v18
	v_or_b32_e32 v0, 0xffffff00, v0
	v_dual_add_nc_u32 v4, v14, v17 :: v_dual_add_nc_u32 v17, 8, v17
	s_delay_alu instid0(VALU_DEP_3) | instskip(NEXT) | instid1(VALU_DEP_3)
	v_or_b32_e32 v2, 1, v2
	v_and_b32_e32 v0, 0xffff, v0
	s_delay_alu instid0(VALU_DEP_2) | instskip(NEXT) | instid1(VALU_DEP_2)
	v_lshlrev_b32_e32 v2, 16, v2
	v_lshl_or_b32 v3, v18, 24, v0
	s_delay_alu instid0(VALU_DEP_2)
	v_or_b32_e32 v2, v0, v2
	ds_store_b64 v4, v[2:3]
	s_branch .LBB3_1
.LBB3_42:
	s_endpgm
	.section	.rodata,"a",@progbits
	.p2align	6, 0x0
	.amdhsa_kernel _Z7dfs_gpuILi12EEvPl
		.amdhsa_group_segment_fixed_size 3216
		.amdhsa_private_segment_fixed_size 0
		.amdhsa_kernarg_size 8
		.amdhsa_user_sgpr_count 2
		.amdhsa_user_sgpr_dispatch_ptr 0
		.amdhsa_user_sgpr_queue_ptr 0
		.amdhsa_user_sgpr_kernarg_segment_ptr 1
		.amdhsa_user_sgpr_dispatch_id 0
		.amdhsa_user_sgpr_kernarg_preload_length 0
		.amdhsa_user_sgpr_kernarg_preload_offset 0
		.amdhsa_user_sgpr_private_segment_size 0
		.amdhsa_wavefront_size32 1
		.amdhsa_uses_dynamic_stack 0
		.amdhsa_enable_private_segment 0
		.amdhsa_system_sgpr_workgroup_id_x 1
		.amdhsa_system_sgpr_workgroup_id_y 0
		.amdhsa_system_sgpr_workgroup_id_z 0
		.amdhsa_system_sgpr_workgroup_info 0
		.amdhsa_system_vgpr_workitem_id 0
		.amdhsa_next_free_vgpr 26
		.amdhsa_next_free_sgpr 8
		.amdhsa_named_barrier_count 0
		.amdhsa_reserve_vcc 1
		.amdhsa_float_round_mode_32 0
		.amdhsa_float_round_mode_16_64 0
		.amdhsa_float_denorm_mode_32 3
		.amdhsa_float_denorm_mode_16_64 3
		.amdhsa_fp16_overflow 0
		.amdhsa_memory_ordered 1
		.amdhsa_forward_progress 1
		.amdhsa_inst_pref_size 14
		.amdhsa_round_robin_scheduling 0
		.amdhsa_exception_fp_ieee_invalid_op 0
		.amdhsa_exception_fp_denorm_src 0
		.amdhsa_exception_fp_ieee_div_zero 0
		.amdhsa_exception_fp_ieee_overflow 0
		.amdhsa_exception_fp_ieee_underflow 0
		.amdhsa_exception_fp_ieee_inexact 0
		.amdhsa_exception_int_div_zero 0
	.end_amdhsa_kernel
	.section	.text._Z7dfs_gpuILi12EEvPl,"axG",@progbits,_Z7dfs_gpuILi12EEvPl,comdat
.Lfunc_end3:
	.size	_Z7dfs_gpuILi12EEvPl, .Lfunc_end3-_Z7dfs_gpuILi12EEvPl
                                        ; -- End function
	.set _Z7dfs_gpuILi12EEvPl.num_vgpr, 26
	.set _Z7dfs_gpuILi12EEvPl.num_agpr, 0
	.set _Z7dfs_gpuILi12EEvPl.numbered_sgpr, 8
	.set _Z7dfs_gpuILi12EEvPl.num_named_barrier, 0
	.set _Z7dfs_gpuILi12EEvPl.private_seg_size, 0
	.set _Z7dfs_gpuILi12EEvPl.uses_vcc, 1
	.set _Z7dfs_gpuILi12EEvPl.uses_flat_scratch, 0
	.set _Z7dfs_gpuILi12EEvPl.has_dyn_sized_stack, 0
	.set _Z7dfs_gpuILi12EEvPl.has_recursion, 0
	.set _Z7dfs_gpuILi12EEvPl.has_indirect_call, 0
	.section	.AMDGPU.csdata,"",@progbits
; Kernel info:
; codeLenInByte = 1672
; TotalNumSgprs: 10
; NumVgprs: 26
; ScratchSize: 0
; MemoryBound: 0
; FloatMode: 240
; IeeeMode: 1
; LDSByteSize: 3216 bytes/workgroup (compile time only)
; SGPRBlocks: 0
; VGPRBlocks: 1
; NumSGPRsForWavesPerEU: 10
; NumVGPRsForWavesPerEU: 26
; NamedBarCnt: 0
; Occupancy: 16
; WaveLimiterHint : 0
; COMPUTE_PGM_RSRC2:SCRATCH_EN: 0
; COMPUTE_PGM_RSRC2:USER_SGPR: 2
; COMPUTE_PGM_RSRC2:TRAP_HANDLER: 0
; COMPUTE_PGM_RSRC2:TGID_X_EN: 1
; COMPUTE_PGM_RSRC2:TGID_Y_EN: 0
; COMPUTE_PGM_RSRC2:TGID_Z_EN: 0
; COMPUTE_PGM_RSRC2:TIDIG_COMP_CNT: 0
	.section	.text._Z7dfs_gpuILi15EEvPl,"axG",@progbits,_Z7dfs_gpuILi15EEvPl,comdat
	.protected	_Z7dfs_gpuILi15EEvPl    ; -- Begin function _Z7dfs_gpuILi15EEvPl
	.globl	_Z7dfs_gpuILi15EEvPl
	.p2align	8
	.type	_Z7dfs_gpuILi15EEvPl,@function
_Z7dfs_gpuILi15EEvPl:                   ; @_Z7dfs_gpuILi15EEvPl
; %bb.0:
	s_bfe_u32 s2, ttmp6, 0x4000c
	s_and_b32 s3, ttmp6, 15
	s_add_co_i32 s2, s2, 1
	s_getreg_b32 s4, hwreg(HW_REG_IB_STS2, 6, 4)
	s_mul_i32 s2, ttmp9, s2
	v_dual_mov_b32 v1, 0 :: v_dual_mov_b32 v19, 4
	s_add_co_i32 s5, s3, s2
	s_load_b64 s[2:3], s[0:1], 0x0
	s_cmp_eq_u32 s4, 0
	s_wait_xcnt 0x0
	s_movk_i32 s1, 0x7c
	s_cselect_b32 s0, ttmp9, s5
	v_mad_u32_u24 v12, v0, s1, 0xd60
	v_lshl_add_u32 v6, s0, 2, v0
	s_movk_i32 s0, 0x168
	v_mul_u32_u24_e32 v4, 0x7c, v0
	v_mul_u32_u24_e32 v13, 0x1f0, v0
	v_mad_u32_u24 v14, v0, s0, 0x7c0
	v_lshl_add_u32 v15, v0, 4, 0xf50
	v_dual_mov_b32 v8, 0x7fff :: v_dual_mov_b32 v3, v1
	v_dual_mov_b32 v9, 0xff00 :: v_dual_mov_b32 v16, 1
	v_ashrrev_i32_e32 v7, 31, v6
	v_mul_u32_u24_e32 v5, 0x168, v0
	v_dual_mov_b32 v0, v1 :: v_dual_mov_b32 v2, v1
	s_mov_b32 s4, 0
	ds_store_b32 v4, v8 offset:3424
	ds_store_b128 v13, v[0:3]
	ds_store_b32 v5, v9 offset:1984
	s_branch .LBB4_3
.LBB4_1:                                ;   in Loop: Header=BB4_3 Depth=1
	s_or_b32 exec_lo, exec_lo, s0
.LBB4_2:                                ;   in Loop: Header=BB4_3 Depth=1
	s_delay_alu instid0(SALU_CYCLE_1) | instskip(SKIP_3) | instid1(SALU_CYCLE_1)
	s_or_b32 exec_lo, exec_lo, s5
	v_cmp_eq_u32_e32 vcc_lo, 0, v17
	v_mov_b32_e32 v19, v17
	s_or_b32 s4, vcc_lo, s4
	s_and_not1_b32 exec_lo, exec_lo, s4
	s_cbranch_execz .LBB4_42
.LBB4_3:                                ; =>This Inner Loop Header: Depth=1
	s_delay_alu instid0(VALU_DEP_1) | instskip(NEXT) | instid1(VALU_DEP_1)
	v_dual_add_nc_u32 v17, -4, v19 :: v_dual_add_nc_u32 v0, v14, v19
	v_dual_add_nc_u32 v20, v14, v17 :: v_dual_add_nc_u32 v2, -2, v0
	v_add_nc_u32_e32 v8, -1, v0
	ds_load_u8 v21, v20
	s_wait_dscnt 0x0
	v_bfe_i32 v11, v21, 0, 8
	s_delay_alu instid0(VALU_DEP_1)
	v_dual_add_nc_u32 v3, -3, v0 :: v_dual_lshlrev_b32 v4, 4, v11
	ds_load_u8 v22, v2
	ds_load_i8 v10, v3
	v_lshl_add_u32 v0, v11, 2, v12
	v_add_nc_u32_e32 v9, v13, v4
	ds_load_b128 v[2:5], v9
	ds_load_u8 v18, v8
	ds_load_b32 v8, v0
	s_wait_dscnt 0x4
	v_cmp_ne_u16_e64 s0, 0, v22
	s_wait_dscnt 0x3
	v_cmp_gt_i16_e32 vcc_lo, 0, v10
	s_wait_dscnt 0x2
	ds_store_b128 v9, v[2:5] offset:16
	s_and_saveexec_b32 s1, s0
	s_delay_alu instid0(SALU_CYCLE_1)
	s_xor_b32 s0, exec_lo, s1
	s_cbranch_execz .LBB4_9
; %bb.4:                                ;   in Loop: Header=BB4_3 Depth=1
	s_and_saveexec_b32 s1, vcc_lo
	s_delay_alu instid0(SALU_CYCLE_1)
	s_xor_b32 s1, exec_lo, s1
	s_cbranch_execz .LBB4_6
; %bb.5:                                ;   in Loop: Header=BB4_3 Depth=1
	v_lshrrev_b64 v[10:11], v11, 0x20000000
	s_wait_dscnt 0x2
	v_add_nc_u16 v18, v18, 1
	s_delay_alu instid0(VALU_DEP_2) | instskip(NEXT) | instid1(VALU_DEP_3)
	v_or_b32_e32 v5, v5, v11
	v_or_b32_e32 v4, v4, v10
                                        ; implicit-def: $vgpr10
	ds_store_b64 v9, v[4:5] offset:24
                                        ; implicit-def: $vgpr9
.LBB4_6:                                ;   in Loop: Header=BB4_3 Depth=1
	s_and_not1_saveexec_b32 s1, s1
	s_cbranch_execz .LBB4_8
; %bb.7:                                ;   in Loop: Header=BB4_3 Depth=1
	v_bfe_i32 v22, v10, 0, 16
	v_add_nc_u64_e32 v[10:11], -1, v[4:5]
	s_delay_alu instid0(VALU_DEP_2) | instskip(NEXT) | instid1(VALU_DEP_2)
	v_lshlrev_b32_e64 v23, v22, 1
	v_dual_add_nc_u32 v22, v15, v22 :: v_dual_bitop2_b32 v4, v10, v4 bitop3:0x40
	s_delay_alu instid0(VALU_DEP_3) | instskip(SKIP_1) | instid1(VALU_DEP_3)
	v_and_b32_e32 v5, v11, v5
	s_wait_dscnt 0x1
	v_xor_b32_e32 v8, v8, v23
	ds_store_b8 v22, v21
	ds_store_b64 v9, v[4:5] offset:24
.LBB4_8:                                ;   in Loop: Header=BB4_3 Depth=1
	s_or_b32 exec_lo, exec_lo, s1
                                        ; implicit-def: $vgpr10
                                        ; implicit-def: $vgpr9
                                        ; implicit-def: $vgpr11
.LBB4_9:                                ;   in Loop: Header=BB4_3 Depth=1
	s_and_not1_saveexec_b32 s0, s0
	s_cbranch_execz .LBB4_15
; %bb.10:                               ;   in Loop: Header=BB4_3 Depth=1
	s_and_saveexec_b32 s1, vcc_lo
	s_delay_alu instid0(SALU_CYCLE_1)
	s_xor_b32 s1, exec_lo, s1
	s_cbranch_execz .LBB4_12
; %bb.11:                               ;   in Loop: Header=BB4_3 Depth=1
	v_lshrrev_b64 v[10:11], v11, 0x20000000
	s_wait_dscnt 0x2
	v_add_nc_u16 v18, v18, 1
	s_delay_alu instid0(VALU_DEP_2) | instskip(NEXT) | instid1(VALU_DEP_3)
	v_or_b32_e32 v3, v11, v3
	v_or_b32_e32 v2, v10, v2
                                        ; implicit-def: $vgpr10
	ds_store_b64 v9, v[2:3] offset:16
                                        ; implicit-def: $vgpr9
.LBB4_12:                               ;   in Loop: Header=BB4_3 Depth=1
	s_and_not1_saveexec_b32 s1, s1
	s_cbranch_execz .LBB4_14
; %bb.13:                               ;   in Loop: Header=BB4_3 Depth=1
	v_bfe_i32 v22, v10, 0, 16
	v_add_nc_u64_e32 v[10:11], -1, v[2:3]
	s_delay_alu instid0(VALU_DEP_2) | instskip(SKIP_1) | instid1(VALU_DEP_3)
	v_lshlrev_b32_e64 v23, v22, 1
	v_add_nc_u32_e32 v22, v15, v22
	v_and_b32_e32 v3, v11, v3
	s_delay_alu instid0(VALU_DEP_4)
	v_and_b32_e32 v2, v10, v2
	s_wait_dscnt 0x1
	v_xor_b32_e32 v8, v8, v23
	ds_store_b8 v22, v21
	ds_store_b64 v9, v[2:3] offset:16
.LBB4_14:                               ;   in Loop: Header=BB4_3 Depth=1
	s_or_b32 exec_lo, exec_lo, s1
.LBB4_15:                               ;   in Loop: Header=BB4_3 Depth=1
	s_delay_alu instid0(SALU_CYCLE_1)
	s_or_b32 exec_lo, exec_lo, s0
	s_wait_dscnt 0x1
	ds_store_b32 v0, v8 offset:4
	v_and_b32_e32 v0, 0xff, v21
	s_mov_b32 s0, 0
	s_mov_b32 s1, exec_lo
	s_delay_alu instid0(VALU_DEP_1)
	v_cmpx_lt_i16_e32 28, v0
	s_xor_b32 s1, exec_lo, s1
	s_cbranch_execnz .LBB4_18
; %bb.16:                               ;   in Loop: Header=BB4_3 Depth=1
	s_and_not1_saveexec_b32 s1, s1
	s_cbranch_execnz .LBB4_25
.LBB4_17:                               ;   in Loop: Header=BB4_3 Depth=1
	s_or_b32 exec_lo, exec_lo, s1
	s_and_saveexec_b32 s5, s0
	s_cbranch_execz .LBB4_2
	s_branch .LBB4_28
.LBB4_18:                               ;   in Loop: Header=BB4_3 Depth=1
	s_mov_b32 s5, -1
	s_mov_b32 s0, exec_lo
	v_cmpx_eq_u16_e32 29, v0
	s_cbranch_execz .LBB4_24
; %bb.19:                               ;   in Loop: Header=BB4_3 Depth=1
	s_mov_b32 s6, exec_lo
	s_mov_b32 s5, exec_lo
	v_mbcnt_lo_u32_b32 v0, s6, 0
                                        ; implicit-def: $vgpr10_vgpr11
	s_delay_alu instid0(VALU_DEP_1)
	v_cmpx_eq_u32_e32 0, v0
	s_cbranch_execz .LBB4_21
; %bb.20:                               ;   in Loop: Header=BB4_3 Depth=1
	s_bcnt1_i32_b32 s6, s6
	s_delay_alu instid0(SALU_CYCLE_1)
	v_dual_mov_b32 v11, v1 :: v_dual_mov_b32 v10, s6
	s_wait_kmcnt 0x0
	global_atomic_add_u64 v[10:11], v1, v[10:11], s[2:3] th:TH_ATOMIC_RETURN scope:SCOPE_DEV
.LBB4_21:                               ;   in Loop: Header=BB4_3 Depth=1
	s_wait_xcnt 0x0
	s_or_b32 exec_lo, exec_lo, s5
	s_wait_loadcnt 0x0
	v_readfirstlane_b32 s7, v11
	v_readfirstlane_b32 s6, v10
	s_mov_b32 s5, exec_lo
	v_add_nc_u64_e32 v[10:11], s[6:7], v[0:1]
	s_delay_alu instid0(VALU_DEP_1)
	v_cmpx_gt_i64_e32 0x5f5e100, v[10:11]
	s_cbranch_execz .LBB4_23
; %bb.22:                               ;   in Loop: Header=BB4_3 Depth=1
	ds_load_b128 v[22:25], v15
	s_wait_kmcnt 0x0
	v_lshl_add_u64 v[10:11], v[10:11], 4, s[2:3]
	s_wait_dscnt 0x0
	global_store_b128 v[10:11], v[22:25], off offset:8
.LBB4_23:                               ;   in Loop: Header=BB4_3 Depth=1
	s_wait_xcnt 0x0
	s_or_b32 exec_lo, exec_lo, s5
	s_delay_alu instid0(SALU_CYCLE_1)
	s_xor_b32 s5, exec_lo, -1
.LBB4_24:                               ;   in Loop: Header=BB4_3 Depth=1
	s_or_b32 exec_lo, exec_lo, s0
	s_delay_alu instid0(SALU_CYCLE_1)
	s_and_b32 s0, s5, exec_lo
                                        ; implicit-def: $vgpr0
	s_and_not1_saveexec_b32 s1, s1
	s_cbranch_execz .LBB4_17
.LBB4_25:                               ;   in Loop: Header=BB4_3 Depth=1
	s_mov_b32 s6, -1
	s_mov_b32 s5, exec_lo
	v_cmpx_eq_u16_e32 9, v0
	s_cbranch_execz .LBB4_27
; %bb.26:                               ;   in Loop: Header=BB4_3 Depth=1
	v_sub_nc_u64_e32 v[10:11], v[4:5], v[2:3]
	v_ashrrev_i32_e32 v9, 31, v8
	s_delay_alu instid0(VALU_DEP_1) | instskip(NEXT) | instid1(VALU_DEP_1)
	v_mad_nc_u64_u32 v[22:23], 0x1ffff, v10, v[8:9]
	v_mov_b32_e32 v0, v22
	s_delay_alu instid0(VALU_DEP_2) | instskip(NEXT) | instid1(VALU_DEP_2)
	v_mad_u32 v23, 0x1ffff, v11, v23
	v_mul_u64_e32 v[24:25], 0x400101, v[0:1]
	s_delay_alu instid0(VALU_DEP_1) | instskip(NEXT) | instid1(VALU_DEP_1)
	v_mov_b32_e32 v0, v25
	v_mad_nc_u64_u32 v[10:11], 0x400101, v23, v[0:1]
	s_delay_alu instid0(VALU_DEP_1) | instskip(NEXT) | instid1(VALU_DEP_1)
	v_dual_mov_b32 v0, v11 :: v_dual_mov_b32 v11, v1
	v_mad_nc_u64_u32 v[10:11], 0x40010, v22, v[10:11]
	s_delay_alu instid0(VALU_DEP_1) | instskip(NEXT) | instid1(VALU_DEP_1)
	v_dual_mov_b32 v10, v11 :: v_dual_mov_b32 v11, v1
	v_add_nc_u64_e32 v[10:11], v[0:1], v[10:11]
	s_delay_alu instid0(VALU_DEP_1) | instskip(NEXT) | instid1(VALU_DEP_1)
	v_mad_nc_u64_u32 v[10:11], 0x40010, v23, v[10:11]
	v_sub_nc_u64_e32 v[24:25], v[22:23], v[10:11]
	s_delay_alu instid0(VALU_DEP_1) | instskip(NEXT) | instid1(VALU_DEP_1)
	v_lshrrev_b64 v[24:25], 1, v[24:25]
	v_add_nc_u64_e32 v[10:11], v[24:25], v[10:11]
	s_delay_alu instid0(VALU_DEP_1) | instskip(NEXT) | instid1(VALU_DEP_1)
	v_lshrrev_b64 v[10:11], 13, v[10:11]
	v_mul_u64_e32 v[10:11], 0x3fff, v[10:11]
	s_delay_alu instid0(VALU_DEP_1) | instskip(NEXT) | instid1(VALU_DEP_1)
	v_sub_nc_u64_e32 v[10:11], v[22:23], v[10:11]
	v_cmp_eq_u64_e32 vcc_lo, v[10:11], v[6:7]
	s_or_not1_b32 s6, vcc_lo, exec_lo
.LBB4_27:                               ;   in Loop: Header=BB4_3 Depth=1
	s_or_b32 exec_lo, exec_lo, s5
	s_delay_alu instid0(SALU_CYCLE_1) | instskip(SKIP_1) | instid1(SALU_CYCLE_1)
	s_and_not1_b32 s0, s0, exec_lo
	s_and_b32 s5, s6, exec_lo
	s_or_b32 s0, s0, s5
	s_or_b32 exec_lo, exec_lo, s1
	s_and_saveexec_b32 s5, s0
	s_cbranch_execz .LBB4_2
.LBB4_28:                               ;   in Loop: Header=BB4_3 Depth=1
	v_add_nc_u16 v0, v21, 1
	v_sub_nc_u16 v9, v21, 30
	s_mov_b32 s6, exec_lo
	s_delay_alu instid0(VALU_DEP_2) | instskip(NEXT) | instid1(VALU_DEP_1)
	v_bfe_i32 v0, v0, 0, 8
	v_cmp_gt_i16_e32 vcc_lo, 16, v0
	v_cmpx_ne_u64_e32 0, v[2:3]
	s_cbranch_execz .LBB4_34
; %bb.29:                               ;   in Loop: Header=BB4_3 Depth=1
	v_ctz_i32_b32_e32 v2, v2
	v_ctz_i32_b32_e32 v3, v3
	s_mov_b32 s7, exec_lo
	s_delay_alu instid0(VALU_DEP_1) | instskip(NEXT) | instid1(VALU_DEP_1)
	v_add_min_u32_e64 v2, v3, 32, v2
	v_add_nc_u16 v2, v9, v2
	s_delay_alu instid0(VALU_DEP_1) | instskip(NEXT) | instid1(VALU_DEP_1)
	v_and_b32_e32 v3, 0xff, v2
	v_cmpx_gt_u16_e32 15, v3
	s_cbranch_execz .LBB4_33
; %bb.30:                               ;   in Loop: Header=BB4_3 Depth=1
	v_lshrrev_b32_e32 v10, v2, v8
	v_cmp_ne_u16_e64 s0, 0, v3
	s_delay_alu instid0(VALU_DEP_2) | instskip(SKIP_1) | instid1(VALU_DEP_1)
	v_and_b32_e32 v10, 1, v10
	s_or_b32 s0, vcc_lo, s0
	v_cmp_eq_u32_e64 s1, 1, v10
	s_and_b32 s1, s0, s1
	s_delay_alu instid0(SALU_CYCLE_1)
	s_and_saveexec_b32 s0, s1
	s_cbranch_execz .LBB4_32
; %bb.31:                               ;   in Loop: Header=BB4_3 Depth=1
	v_mov_b32_e32 v17, v19
	ds_store_b8 v20, v0
	ds_store_b8 v20, v2 offset:1
	ds_store_b8 v20, v1 offset:2
	;; [unrolled: 1-line block ×3, first 2 shown]
.LBB4_32:                               ;   in Loop: Header=BB4_3 Depth=1
	s_or_b32 exec_lo, exec_lo, s0
.LBB4_33:                               ;   in Loop: Header=BB4_3 Depth=1
	s_delay_alu instid0(SALU_CYCLE_1)
	s_or_b32 exec_lo, exec_lo, s7
.LBB4_34:                               ;   in Loop: Header=BB4_3 Depth=1
	s_delay_alu instid0(SALU_CYCLE_1) | instskip(NEXT) | instid1(SALU_CYCLE_1)
	s_or_b32 exec_lo, exec_lo, s6
	s_mov_b32 s6, exec_lo
	v_cmpx_ne_u64_e32 0, v[4:5]
	s_cbranch_execz .LBB4_40
; %bb.35:                               ;   in Loop: Header=BB4_3 Depth=1
	v_ctz_i32_b32_e32 v2, v4
	v_ctz_i32_b32_e32 v3, v5
	s_mov_b32 s7, exec_lo
	s_delay_alu instid0(VALU_DEP_1) | instskip(NEXT) | instid1(VALU_DEP_1)
	v_add_min_u32_e64 v2, v3, 32, v2
	v_add_nc_u16 v2, v9, v2
	s_delay_alu instid0(VALU_DEP_1) | instskip(NEXT) | instid1(VALU_DEP_1)
	v_and_b32_e32 v3, 0xff, v2
	v_cmpx_gt_u16_e32 15, v3
	s_cbranch_execz .LBB4_39
; %bb.36:                               ;   in Loop: Header=BB4_3 Depth=1
	v_lshrrev_b32_e32 v4, v2, v8
	v_cmp_ne_u16_e64 s0, 0, v3
	s_delay_alu instid0(VALU_DEP_2) | instskip(SKIP_1) | instid1(VALU_DEP_1)
	v_and_b32_e32 v4, 1, v4
	s_or_b32 s0, vcc_lo, s0
	v_cmp_eq_u32_e64 s1, 1, v4
	s_and_b32 s1, s0, s1
	s_delay_alu instid0(SALU_CYCLE_1)
	s_and_saveexec_b32 s0, s1
	s_cbranch_execz .LBB4_38
; %bb.37:                               ;   in Loop: Header=BB4_3 Depth=1
	v_dual_add_nc_u32 v3, v14, v17 :: v_dual_add_nc_u32 v17, 4, v17
	ds_store_b8 v3, v0
	ds_store_b8 v3, v2 offset:1
	ds_store_b8 v3, v16 offset:2
	ds_store_b8 v3, v18 offset:3
.LBB4_38:                               ;   in Loop: Header=BB4_3 Depth=1
	s_or_b32 exec_lo, exec_lo, s0
.LBB4_39:                               ;   in Loop: Header=BB4_3 Depth=1
	s_delay_alu instid0(SALU_CYCLE_1)
	s_or_b32 exec_lo, exec_lo, s7
.LBB4_40:                               ;   in Loop: Header=BB4_3 Depth=1
	s_delay_alu instid0(SALU_CYCLE_1) | instskip(SKIP_2) | instid1(VALU_DEP_1)
	s_or_b32 exec_lo, exec_lo, s6
	v_bfe_i32 v2, v18, 0, 8
	s_mov_b32 s0, exec_lo
	v_cmpx_gt_i16_e32 15, v2
	s_cbranch_execz .LBB4_1
; %bb.41:                               ;   in Loop: Header=BB4_3 Depth=1
	v_lshlrev_b16 v2, 8, v18
	v_or_b32_e32 v0, 0xffffff00, v0
	v_dual_add_nc_u32 v4, v14, v17 :: v_dual_add_nc_u32 v17, 8, v17
	s_delay_alu instid0(VALU_DEP_3) | instskip(NEXT) | instid1(VALU_DEP_3)
	v_or_b32_e32 v2, 1, v2
	v_and_b32_e32 v0, 0xffff, v0
	s_delay_alu instid0(VALU_DEP_2) | instskip(NEXT) | instid1(VALU_DEP_2)
	v_lshlrev_b32_e32 v2, 16, v2
	v_lshl_or_b32 v3, v18, 24, v0
	s_delay_alu instid0(VALU_DEP_2)
	v_or_b32_e32 v2, v0, v2
	ds_store_b64 v4, v[2:3]
	s_branch .LBB4_1
.LBB4_42:
	s_endpgm
	.section	.rodata,"a",@progbits
	.p2align	6, 0x0
	.amdhsa_kernel _Z7dfs_gpuILi15EEvPl
		.amdhsa_group_segment_fixed_size 3984
		.amdhsa_private_segment_fixed_size 0
		.amdhsa_kernarg_size 8
		.amdhsa_user_sgpr_count 2
		.amdhsa_user_sgpr_dispatch_ptr 0
		.amdhsa_user_sgpr_queue_ptr 0
		.amdhsa_user_sgpr_kernarg_segment_ptr 1
		.amdhsa_user_sgpr_dispatch_id 0
		.amdhsa_user_sgpr_kernarg_preload_length 0
		.amdhsa_user_sgpr_kernarg_preload_offset 0
		.amdhsa_user_sgpr_private_segment_size 0
		.amdhsa_wavefront_size32 1
		.amdhsa_uses_dynamic_stack 0
		.amdhsa_enable_private_segment 0
		.amdhsa_system_sgpr_workgroup_id_x 1
		.amdhsa_system_sgpr_workgroup_id_y 0
		.amdhsa_system_sgpr_workgroup_id_z 0
		.amdhsa_system_sgpr_workgroup_info 0
		.amdhsa_system_vgpr_workitem_id 0
		.amdhsa_next_free_vgpr 26
		.amdhsa_next_free_sgpr 8
		.amdhsa_named_barrier_count 0
		.amdhsa_reserve_vcc 1
		.amdhsa_float_round_mode_32 0
		.amdhsa_float_round_mode_16_64 0
		.amdhsa_float_denorm_mode_32 3
		.amdhsa_float_denorm_mode_16_64 3
		.amdhsa_fp16_overflow 0
		.amdhsa_memory_ordered 1
		.amdhsa_forward_progress 1
		.amdhsa_inst_pref_size 14
		.amdhsa_round_robin_scheduling 0
		.amdhsa_exception_fp_ieee_invalid_op 0
		.amdhsa_exception_fp_denorm_src 0
		.amdhsa_exception_fp_ieee_div_zero 0
		.amdhsa_exception_fp_ieee_overflow 0
		.amdhsa_exception_fp_ieee_underflow 0
		.amdhsa_exception_fp_ieee_inexact 0
		.amdhsa_exception_int_div_zero 0
	.end_amdhsa_kernel
	.section	.text._Z7dfs_gpuILi15EEvPl,"axG",@progbits,_Z7dfs_gpuILi15EEvPl,comdat
.Lfunc_end4:
	.size	_Z7dfs_gpuILi15EEvPl, .Lfunc_end4-_Z7dfs_gpuILi15EEvPl
                                        ; -- End function
	.set _Z7dfs_gpuILi15EEvPl.num_vgpr, 26
	.set _Z7dfs_gpuILi15EEvPl.num_agpr, 0
	.set _Z7dfs_gpuILi15EEvPl.numbered_sgpr, 8
	.set _Z7dfs_gpuILi15EEvPl.num_named_barrier, 0
	.set _Z7dfs_gpuILi15EEvPl.private_seg_size, 0
	.set _Z7dfs_gpuILi15EEvPl.uses_vcc, 1
	.set _Z7dfs_gpuILi15EEvPl.uses_flat_scratch, 0
	.set _Z7dfs_gpuILi15EEvPl.has_dyn_sized_stack, 0
	.set _Z7dfs_gpuILi15EEvPl.has_recursion, 0
	.set _Z7dfs_gpuILi15EEvPl.has_indirect_call, 0
	.section	.AMDGPU.csdata,"",@progbits
; Kernel info:
; codeLenInByte = 1672
; TotalNumSgprs: 10
; NumVgprs: 26
; ScratchSize: 0
; MemoryBound: 0
; FloatMode: 240
; IeeeMode: 1
; LDSByteSize: 3984 bytes/workgroup (compile time only)
; SGPRBlocks: 0
; VGPRBlocks: 1
; NumSGPRsForWavesPerEU: 10
; NumVGPRsForWavesPerEU: 26
; NamedBarCnt: 0
; Occupancy: 16
; WaveLimiterHint : 0
; COMPUTE_PGM_RSRC2:SCRATCH_EN: 0
; COMPUTE_PGM_RSRC2:USER_SGPR: 2
; COMPUTE_PGM_RSRC2:TRAP_HANDLER: 0
; COMPUTE_PGM_RSRC2:TGID_X_EN: 1
; COMPUTE_PGM_RSRC2:TGID_Y_EN: 0
; COMPUTE_PGM_RSRC2:TGID_Z_EN: 0
; COMPUTE_PGM_RSRC2:TIDIG_COMP_CNT: 0
	.section	.AMDGPU.gpr_maximums,"",@progbits
	.set amdgpu.max_num_vgpr, 0
	.set amdgpu.max_num_agpr, 0
	.set amdgpu.max_num_sgpr, 0
	.section	.AMDGPU.csdata,"",@progbits
	.type	__hip_cuid_d44d9a7bf4519fd0,@object ; @__hip_cuid_d44d9a7bf4519fd0
	.section	.bss,"aw",@nobits
	.globl	__hip_cuid_d44d9a7bf4519fd0
__hip_cuid_d44d9a7bf4519fd0:
	.byte	0                               ; 0x0
	.size	__hip_cuid_d44d9a7bf4519fd0, 1

	.ident	"AMD clang version 22.0.0git (https://github.com/RadeonOpenCompute/llvm-project roc-7.2.4 26084 f58b06dce1f9c15707c5f808fd002e18c2accf7e)"
	.section	".note.GNU-stack","",@progbits
	.addrsig
	.addrsig_sym __hip_cuid_d44d9a7bf4519fd0
	.amdgpu_metadata
---
amdhsa.kernels:
  - .args:
      - .address_space:  global
        .offset:         0
        .size:           8
        .value_kind:     global_buffer
    .group_segment_fixed_size: 1904
    .kernarg_segment_align: 8
    .kernarg_segment_size: 8
    .language:       OpenCL C
    .language_version:
      - 2
      - 0
    .max_flat_workgroup_size: 1024
    .name:           _Z7dfs_gpuILi7EEvPl
    .private_segment_fixed_size: 0
    .sgpr_count:     10
    .sgpr_spill_count: 0
    .symbol:         _Z7dfs_gpuILi7EEvPl.kd
    .uniform_work_group_size: 1
    .uses_dynamic_stack: false
    .vgpr_count:     26
    .vgpr_spill_count: 0
    .wavefront_size: 32
  - .args:
      - .address_space:  global
        .offset:         0
        .size:           8
        .value_kind:     global_buffer
    .group_segment_fixed_size: 2160
    .kernarg_segment_align: 8
    .kernarg_segment_size: 8
    .language:       OpenCL C
    .language_version:
      - 2
      - 0
    .max_flat_workgroup_size: 1024
    .name:           _Z7dfs_gpuILi8EEvPl
    .private_segment_fixed_size: 0
    .sgpr_count:     10
    .sgpr_spill_count: 0
    .symbol:         _Z7dfs_gpuILi8EEvPl.kd
    .uniform_work_group_size: 1
    .uses_dynamic_stack: false
    .vgpr_count:     26
    .vgpr_spill_count: 0
    .wavefront_size: 32
  - .args:
      - .address_space:  global
        .offset:         0
        .size:           8
        .value_kind:     global_buffer
    .group_segment_fixed_size: 2960
    .kernarg_segment_align: 8
    .kernarg_segment_size: 8
    .language:       OpenCL C
    .language_version:
      - 2
      - 0
    .max_flat_workgroup_size: 1024
    .name:           _Z7dfs_gpuILi11EEvPl
    .private_segment_fixed_size: 0
    .sgpr_count:     10
    .sgpr_spill_count: 0
    .symbol:         _Z7dfs_gpuILi11EEvPl.kd
    .uniform_work_group_size: 1
    .uses_dynamic_stack: false
    .vgpr_count:     26
    .vgpr_spill_count: 0
    .wavefront_size: 32
  - .args:
      - .address_space:  global
        .offset:         0
        .size:           8
        .value_kind:     global_buffer
    .group_segment_fixed_size: 3216
    .kernarg_segment_align: 8
    .kernarg_segment_size: 8
    .language:       OpenCL C
    .language_version:
      - 2
      - 0
    .max_flat_workgroup_size: 1024
    .name:           _Z7dfs_gpuILi12EEvPl
    .private_segment_fixed_size: 0
    .sgpr_count:     10
    .sgpr_spill_count: 0
    .symbol:         _Z7dfs_gpuILi12EEvPl.kd
    .uniform_work_group_size: 1
    .uses_dynamic_stack: false
    .vgpr_count:     26
    .vgpr_spill_count: 0
    .wavefront_size: 32
  - .args:
      - .address_space:  global
        .offset:         0
        .size:           8
        .value_kind:     global_buffer
    .group_segment_fixed_size: 3984
    .kernarg_segment_align: 8
    .kernarg_segment_size: 8
    .language:       OpenCL C
    .language_version:
      - 2
      - 0
    .max_flat_workgroup_size: 1024
    .name:           _Z7dfs_gpuILi15EEvPl
    .private_segment_fixed_size: 0
    .sgpr_count:     10
    .sgpr_spill_count: 0
    .symbol:         _Z7dfs_gpuILi15EEvPl.kd
    .uniform_work_group_size: 1
    .uses_dynamic_stack: false
    .vgpr_count:     26
    .vgpr_spill_count: 0
    .wavefront_size: 32
amdhsa.target:   amdgcn-amd-amdhsa--gfx1250
amdhsa.version:
  - 1
  - 2
...

	.end_amdgpu_metadata
